;; amdgpu-corpus repo=ROCm/rocFFT kind=compiled arch=gfx1030 opt=O3
	.text
	.amdgcn_target "amdgcn-amd-amdhsa--gfx1030"
	.amdhsa_code_object_version 6
	.protected	fft_rtc_back_len1650_factors_11_2_3_5_5_wgs_110_tpt_110_halfLds_dp_op_CI_CI_sbrr_dirReg ; -- Begin function fft_rtc_back_len1650_factors_11_2_3_5_5_wgs_110_tpt_110_halfLds_dp_op_CI_CI_sbrr_dirReg
	.globl	fft_rtc_back_len1650_factors_11_2_3_5_5_wgs_110_tpt_110_halfLds_dp_op_CI_CI_sbrr_dirReg
	.p2align	8
	.type	fft_rtc_back_len1650_factors_11_2_3_5_5_wgs_110_tpt_110_halfLds_dp_op_CI_CI_sbrr_dirReg,@function
fft_rtc_back_len1650_factors_11_2_3_5_5_wgs_110_tpt_110_halfLds_dp_op_CI_CI_sbrr_dirReg: ; @fft_rtc_back_len1650_factors_11_2_3_5_5_wgs_110_tpt_110_halfLds_dp_op_CI_CI_sbrr_dirReg
; %bb.0:
	s_clause 0x2
	s_load_dwordx4 s[16:19], s[4:5], 0x18
	s_load_dwordx4 s[12:15], s[4:5], 0x0
	;; [unrolled: 1-line block ×3, first 2 shown]
	v_mul_u32_u24_e32 v2, 0x254, v0
	v_mov_b32_e32 v1, 0
	v_mov_b32_e32 v4, 0
	;; [unrolled: 1-line block ×3, first 2 shown]
	s_waitcnt lgkmcnt(0)
	s_load_dwordx2 s[20:21], s[16:17], 0x0
	s_load_dwordx2 s[2:3], s[18:19], 0x0
	v_cmp_lt_u64_e64 s0, s[14:15], 2
	v_add_nc_u32_sdwa v6, s6, v2 dst_sel:DWORD dst_unused:UNUSED_PAD src0_sel:DWORD src1_sel:WORD_1
	v_mov_b32_e32 v7, v1
	s_and_b32 vcc_lo, exec_lo, s0
	s_cbranch_vccnz .LBB0_8
; %bb.1:
	s_load_dwordx2 s[0:1], s[4:5], 0x10
	v_mov_b32_e32 v4, 0
	v_mov_b32_e32 v5, 0
	s_add_u32 s6, s18, 8
	s_addc_u32 s7, s19, 0
	s_add_u32 s22, s16, 8
	s_addc_u32 s23, s17, 0
	v_mov_b32_e32 v117, v5
	v_mov_b32_e32 v116, v4
	s_mov_b64 s[26:27], 1
	s_waitcnt lgkmcnt(0)
	s_add_u32 s24, s0, 8
	s_addc_u32 s25, s1, 0
.LBB0_2:                                ; =>This Inner Loop Header: Depth=1
	s_load_dwordx2 s[28:29], s[24:25], 0x0
                                        ; implicit-def: $vgpr118_vgpr119
	s_mov_b32 s0, exec_lo
	s_waitcnt lgkmcnt(0)
	v_or_b32_e32 v2, s29, v7
	v_cmpx_ne_u64_e32 0, v[1:2]
	s_xor_b32 s1, exec_lo, s0
	s_cbranch_execz .LBB0_4
; %bb.3:                                ;   in Loop: Header=BB0_2 Depth=1
	v_cvt_f32_u32_e32 v2, s28
	v_cvt_f32_u32_e32 v3, s29
	s_sub_u32 s0, 0, s28
	s_subb_u32 s30, 0, s29
	v_fmac_f32_e32 v2, 0x4f800000, v3
	v_rcp_f32_e32 v2, v2
	v_mul_f32_e32 v2, 0x5f7ffffc, v2
	v_mul_f32_e32 v3, 0x2f800000, v2
	v_trunc_f32_e32 v3, v3
	v_fmac_f32_e32 v2, 0xcf800000, v3
	v_cvt_u32_f32_e32 v3, v3
	v_cvt_u32_f32_e32 v2, v2
	v_mul_lo_u32 v8, s0, v3
	v_mul_hi_u32 v9, s0, v2
	v_mul_lo_u32 v10, s30, v2
	v_add_nc_u32_e32 v8, v9, v8
	v_mul_lo_u32 v9, s0, v2
	v_add_nc_u32_e32 v8, v8, v10
	v_mul_hi_u32 v10, v2, v9
	v_mul_lo_u32 v11, v2, v8
	v_mul_hi_u32 v12, v2, v8
	v_mul_hi_u32 v13, v3, v9
	v_mul_lo_u32 v9, v3, v9
	v_mul_hi_u32 v14, v3, v8
	v_mul_lo_u32 v8, v3, v8
	v_add_co_u32 v10, vcc_lo, v10, v11
	v_add_co_ci_u32_e32 v11, vcc_lo, 0, v12, vcc_lo
	v_add_co_u32 v9, vcc_lo, v10, v9
	v_add_co_ci_u32_e32 v9, vcc_lo, v11, v13, vcc_lo
	v_add_co_ci_u32_e32 v10, vcc_lo, 0, v14, vcc_lo
	v_add_co_u32 v8, vcc_lo, v9, v8
	v_add_co_ci_u32_e32 v9, vcc_lo, 0, v10, vcc_lo
	v_add_co_u32 v2, vcc_lo, v2, v8
	v_add_co_ci_u32_e32 v3, vcc_lo, v3, v9, vcc_lo
	v_mul_hi_u32 v8, s0, v2
	v_mul_lo_u32 v10, s30, v2
	v_mul_lo_u32 v9, s0, v3
	v_add_nc_u32_e32 v8, v8, v9
	v_mul_lo_u32 v9, s0, v2
	v_add_nc_u32_e32 v8, v8, v10
	v_mul_hi_u32 v10, v2, v9
	v_mul_lo_u32 v11, v2, v8
	v_mul_hi_u32 v12, v2, v8
	v_mul_hi_u32 v13, v3, v9
	v_mul_lo_u32 v9, v3, v9
	v_mul_hi_u32 v14, v3, v8
	v_mul_lo_u32 v8, v3, v8
	v_add_co_u32 v10, vcc_lo, v10, v11
	v_add_co_ci_u32_e32 v11, vcc_lo, 0, v12, vcc_lo
	v_add_co_u32 v9, vcc_lo, v10, v9
	v_add_co_ci_u32_e32 v9, vcc_lo, v11, v13, vcc_lo
	v_add_co_ci_u32_e32 v10, vcc_lo, 0, v14, vcc_lo
	v_add_co_u32 v8, vcc_lo, v9, v8
	v_add_co_ci_u32_e32 v9, vcc_lo, 0, v10, vcc_lo
	v_add_co_u32 v8, vcc_lo, v2, v8
	v_add_co_ci_u32_e32 v10, vcc_lo, v3, v9, vcc_lo
	v_mul_hi_u32 v12, v6, v8
	v_mad_u64_u32 v[8:9], null, v7, v8, 0
	v_mad_u64_u32 v[2:3], null, v6, v10, 0
	v_mad_u64_u32 v[10:11], null, v7, v10, 0
	v_add_co_u32 v2, vcc_lo, v12, v2
	v_add_co_ci_u32_e32 v3, vcc_lo, 0, v3, vcc_lo
	v_add_co_u32 v2, vcc_lo, v2, v8
	v_add_co_ci_u32_e32 v2, vcc_lo, v3, v9, vcc_lo
	v_add_co_ci_u32_e32 v3, vcc_lo, 0, v11, vcc_lo
	v_add_co_u32 v8, vcc_lo, v2, v10
	v_add_co_ci_u32_e32 v9, vcc_lo, 0, v3, vcc_lo
	v_mul_lo_u32 v10, s29, v8
	v_mad_u64_u32 v[2:3], null, s28, v8, 0
	v_mul_lo_u32 v11, s28, v9
	v_sub_co_u32 v2, vcc_lo, v6, v2
	v_add3_u32 v3, v3, v11, v10
	v_sub_nc_u32_e32 v10, v7, v3
	v_subrev_co_ci_u32_e64 v10, s0, s29, v10, vcc_lo
	v_add_co_u32 v11, s0, v8, 2
	v_add_co_ci_u32_e64 v12, s0, 0, v9, s0
	v_sub_co_u32 v13, s0, v2, s28
	v_sub_co_ci_u32_e32 v3, vcc_lo, v7, v3, vcc_lo
	v_subrev_co_ci_u32_e64 v10, s0, 0, v10, s0
	v_cmp_le_u32_e32 vcc_lo, s28, v13
	v_cmp_eq_u32_e64 s0, s29, v3
	v_cndmask_b32_e64 v13, 0, -1, vcc_lo
	v_cmp_le_u32_e32 vcc_lo, s29, v10
	v_cndmask_b32_e64 v14, 0, -1, vcc_lo
	v_cmp_le_u32_e32 vcc_lo, s28, v2
	;; [unrolled: 2-line block ×3, first 2 shown]
	v_cndmask_b32_e64 v15, 0, -1, vcc_lo
	v_cmp_eq_u32_e32 vcc_lo, s29, v10
	v_cndmask_b32_e64 v2, v15, v2, s0
	v_cndmask_b32_e32 v10, v14, v13, vcc_lo
	v_add_co_u32 v13, vcc_lo, v8, 1
	v_add_co_ci_u32_e32 v14, vcc_lo, 0, v9, vcc_lo
	v_cmp_ne_u32_e32 vcc_lo, 0, v10
	v_cndmask_b32_e32 v3, v14, v12, vcc_lo
	v_cndmask_b32_e32 v10, v13, v11, vcc_lo
	v_cmp_ne_u32_e32 vcc_lo, 0, v2
	v_cndmask_b32_e32 v119, v9, v3, vcc_lo
	v_cndmask_b32_e32 v118, v8, v10, vcc_lo
.LBB0_4:                                ;   in Loop: Header=BB0_2 Depth=1
	s_andn2_saveexec_b32 s0, s1
	s_cbranch_execz .LBB0_6
; %bb.5:                                ;   in Loop: Header=BB0_2 Depth=1
	v_cvt_f32_u32_e32 v2, s28
	s_sub_i32 s1, 0, s28
	v_mov_b32_e32 v119, v1
	v_rcp_iflag_f32_e32 v2, v2
	v_mul_f32_e32 v2, 0x4f7ffffe, v2
	v_cvt_u32_f32_e32 v2, v2
	v_mul_lo_u32 v3, s1, v2
	v_mul_hi_u32 v3, v2, v3
	v_add_nc_u32_e32 v2, v2, v3
	v_mul_hi_u32 v2, v6, v2
	v_mul_lo_u32 v3, v2, s28
	v_add_nc_u32_e32 v8, 1, v2
	v_sub_nc_u32_e32 v3, v6, v3
	v_subrev_nc_u32_e32 v9, s28, v3
	v_cmp_le_u32_e32 vcc_lo, s28, v3
	v_cndmask_b32_e32 v3, v3, v9, vcc_lo
	v_cndmask_b32_e32 v2, v2, v8, vcc_lo
	v_cmp_le_u32_e32 vcc_lo, s28, v3
	v_add_nc_u32_e32 v8, 1, v2
	v_cndmask_b32_e32 v118, v2, v8, vcc_lo
.LBB0_6:                                ;   in Loop: Header=BB0_2 Depth=1
	s_or_b32 exec_lo, exec_lo, s0
	v_mul_lo_u32 v8, v119, s28
	v_mul_lo_u32 v9, v118, s29
	s_load_dwordx2 s[0:1], s[22:23], 0x0
	v_mad_u64_u32 v[2:3], null, v118, s28, 0
	s_load_dwordx2 s[28:29], s[6:7], 0x0
	s_add_u32 s26, s26, 1
	s_addc_u32 s27, s27, 0
	s_add_u32 s6, s6, 8
	s_addc_u32 s7, s7, 0
	s_add_u32 s22, s22, 8
	v_add3_u32 v3, v3, v9, v8
	v_sub_co_u32 v2, vcc_lo, v6, v2
	s_addc_u32 s23, s23, 0
	s_add_u32 s24, s24, 8
	v_sub_co_ci_u32_e32 v3, vcc_lo, v7, v3, vcc_lo
	s_addc_u32 s25, s25, 0
	s_waitcnt lgkmcnt(0)
	v_mul_lo_u32 v6, s0, v3
	v_mul_lo_u32 v7, s1, v2
	v_mad_u64_u32 v[4:5], null, s0, v2, v[4:5]
	v_mul_lo_u32 v3, s28, v3
	v_mul_lo_u32 v8, s29, v2
	v_mad_u64_u32 v[116:117], null, s28, v2, v[116:117]
	v_cmp_ge_u64_e64 s0, s[26:27], s[14:15]
	v_add3_u32 v5, v7, v5, v6
	v_add3_u32 v117, v8, v117, v3
	s_and_b32 vcc_lo, exec_lo, s0
	s_cbranch_vccnz .LBB0_9
; %bb.7:                                ;   in Loop: Header=BB0_2 Depth=1
	v_mov_b32_e32 v6, v118
	v_mov_b32_e32 v7, v119
	s_branch .LBB0_2
.LBB0_8:
	v_mov_b32_e32 v117, v5
	v_mov_b32_e32 v119, v7
	;; [unrolled: 1-line block ×4, first 2 shown]
.LBB0_9:
	s_load_dwordx2 s[0:1], s[4:5], 0x28
	v_mul_hi_u32 v1, 0x253c826, v0
	s_lshl_b64 s[6:7], s[14:15], 3
                                        ; implicit-def: $vgpr134
	s_add_u32 s4, s18, s6
	s_addc_u32 s5, s19, s7
	s_waitcnt lgkmcnt(0)
	v_cmp_gt_u64_e32 vcc_lo, s[0:1], v[118:119]
	v_cmp_le_u64_e64 s0, s[0:1], v[118:119]
	s_and_saveexec_b32 s1, s0
	s_xor_b32 s0, exec_lo, s1
; %bb.10:
	v_mul_u32_u24_e32 v1, 0x6e, v1
                                        ; implicit-def: $vgpr4_vgpr5
	v_sub_nc_u32_e32 v134, v0, v1
                                        ; implicit-def: $vgpr1
                                        ; implicit-def: $vgpr0
; %bb.11:
	s_or_saveexec_b32 s1, s0
	s_load_dwordx2 s[4:5], s[4:5], 0x0
                                        ; implicit-def: $vgpr22_vgpr23
                                        ; implicit-def: $vgpr26_vgpr27
                                        ; implicit-def: $vgpr34_vgpr35
                                        ; implicit-def: $vgpr58_vgpr59
                                        ; implicit-def: $vgpr66_vgpr67
                                        ; implicit-def: $vgpr70_vgpr71
                                        ; implicit-def: $vgpr78_vgpr79
                                        ; implicit-def: $vgpr54_vgpr55
                                        ; implicit-def: $vgpr50_vgpr51
                                        ; implicit-def: $vgpr38_vgpr39
                                        ; implicit-def: $vgpr6_vgpr7
                                        ; implicit-def: $vgpr10_vgpr11
                                        ; implicit-def: $vgpr14_vgpr15
                                        ; implicit-def: $vgpr18_vgpr19
                                        ; implicit-def: $vgpr30_vgpr31
                                        ; implicit-def: $vgpr46_vgpr47
                                        ; implicit-def: $vgpr42_vgpr43
                                        ; implicit-def: $vgpr74_vgpr75
                                        ; implicit-def: $vgpr62_vgpr63
                                        ; implicit-def: $vgpr82_vgpr83
                                        ; implicit-def: $vgpr86_vgpr87
                                        ; implicit-def: $vgpr2_vgpr3
	s_xor_b32 exec_lo, exec_lo, s1
	s_cbranch_execz .LBB0_15
; %bb.12:
	s_add_u32 s6, s16, s6
	s_addc_u32 s7, s17, s7
	v_mul_u32_u24_e32 v1, 0x6e, v1
	s_load_dwordx2 s[6:7], s[6:7], 0x0
	v_lshlrev_b64 v[4:5], 4, v[4:5]
                                        ; implicit-def: $vgpr36_vgpr37
                                        ; implicit-def: $vgpr48_vgpr49
                                        ; implicit-def: $vgpr52_vgpr53
                                        ; implicit-def: $vgpr76_vgpr77
                                        ; implicit-def: $vgpr68_vgpr69
                                        ; implicit-def: $vgpr64_vgpr65
                                        ; implicit-def: $vgpr56_vgpr57
                                        ; implicit-def: $vgpr32_vgpr33
	v_sub_nc_u32_e32 v134, v0, v1
	v_add_nc_u32_e32 v15, 0x96, v134
	v_mad_u64_u32 v[0:1], null, s20, v134, 0
	v_add_nc_u32_e32 v17, 0x12c, v134
	v_add_nc_u32_e32 v18, 0x1c2, v134
	v_mad_u64_u32 v[2:3], null, s20, v15, 0
	v_add_nc_u32_e32 v19, 0x258, v134
	v_mad_u64_u32 v[6:7], null, s20, v17, 0
	v_mad_u64_u32 v[10:11], null, s20, v18, 0
	s_waitcnt lgkmcnt(0)
	v_mul_lo_u32 v16, s7, v118
	v_mul_lo_u32 v20, s6, v119
	v_mad_u64_u32 v[8:9], null, s6, v118, 0
	v_mad_u64_u32 v[12:13], null, s21, v134, v[1:2]
	v_mad_u64_u32 v[13:14], null, s20, v19, 0
	v_add_nc_u32_e32 v21, 0x4b0, v134
	v_add_nc_u32_e32 v24, 0x546, v134
	v_add3_u32 v9, v9, v20, v16
	v_mad_u64_u32 v[15:16], null, s21, v15, v[3:4]
	v_mov_b32_e32 v1, v12
	v_add_nc_u32_e32 v12, 0x2ee, v134
	v_lshlrev_b64 v[8:9], 4, v[8:9]
	v_add_nc_u32_e32 v25, 0x5dc, v134
	s_mov_b32 s6, exec_lo
	v_lshlrev_b64 v[0:1], 4, v[0:1]
	v_mov_b32_e32 v3, v15
	v_mad_u64_u32 v[16:17], null, s21, v17, v[7:8]
	v_add_co_u32 v7, s0, s8, v8
	v_add_co_ci_u32_e64 v8, s0, s9, v9, s0
	v_lshlrev_b64 v[2:3], 4, v[2:3]
	v_add_co_u32 v22, s0, v7, v4
	v_add_co_ci_u32_e64 v23, s0, v8, v5, s0
	v_mad_u64_u32 v[8:9], null, s21, v18, v[11:12]
	v_add_co_u32 v0, s0, v22, v0
	v_add_co_ci_u32_e64 v1, s0, v23, v1, s0
	v_add_co_u32 v4, s0, v22, v2
	v_mov_b32_e32 v7, v16
	v_mad_u64_u32 v[15:16], null, s20, v12, 0
	v_mov_b32_e32 v9, v14
	v_add_co_ci_u32_e64 v5, s0, v23, v3, s0
	v_mov_b32_e32 v11, v8
	s_clause 0x1
	global_load_dwordx4 v[0:3], v[0:1], off
	global_load_dwordx4 v[84:87], v[4:5], off
	v_lshlrev_b64 v[4:5], 4, v[6:7]
	v_mad_u64_u32 v[6:7], null, s21, v19, v[9:10]
	v_lshlrev_b64 v[8:9], 4, v[10:11]
	v_mov_b32_e32 v7, v16
	v_add_nc_u32_e32 v17, 0x384, v134
	v_add_co_u32 v4, s0, v22, v4
	v_add_co_ci_u32_e64 v5, s0, v23, v5, s0
	v_mov_b32_e32 v14, v6
	v_mad_u64_u32 v[6:7], null, s21, v12, v[7:8]
	v_mad_u64_u32 v[11:12], null, s20, v17, 0
	v_add_co_u32 v7, s0, v22, v8
	v_add_co_ci_u32_e64 v8, s0, v23, v9, s0
	v_mov_b32_e32 v16, v6
	v_lshlrev_b64 v[9:10], 4, v[13:14]
	s_clause 0x1
	global_load_dwordx4 v[80:83], v[4:5], off
	global_load_dwordx4 v[60:63], v[7:8], off
	v_mov_b32_e32 v6, v12
	v_add_nc_u32_e32 v19, 0x41a, v134
	v_lshlrev_b64 v[7:8], 4, v[15:16]
	v_mad_u64_u32 v[15:16], null, s20, v21, 0
	v_add_co_u32 v4, s0, v22, v9
	v_add_co_ci_u32_e64 v5, s0, v23, v10, s0
	v_mad_u64_u32 v[9:10], null, s21, v17, v[6:7]
	v_mad_u64_u32 v[13:14], null, s20, v19, 0
	v_add_co_u32 v6, s0, v22, v7
	v_add_co_ci_u32_e64 v7, s0, v23, v8, s0
	v_mov_b32_e32 v12, v9
	v_mov_b32_e32 v9, v16
	;; [unrolled: 1-line block ×3, first 2 shown]
	v_mad_u64_u32 v[17:18], null, s20, v24, 0
	s_clause 0x1
	global_load_dwordx4 v[72:75], v[4:5], off
	global_load_dwordx4 v[40:43], v[6:7], off
	v_lshlrev_b64 v[5:6], 4, v[11:12]
	v_mad_u64_u32 v[19:20], null, s21, v19, v[8:9]
	v_mad_u64_u32 v[8:9], null, s21, v21, v[9:10]
	;; [unrolled: 1-line block ×3, first 2 shown]
	v_mov_b32_e32 v4, v18
                                        ; implicit-def: $vgpr20_vgpr21
	v_mov_b32_e32 v14, v19
	v_mov_b32_e32 v16, v8
	v_mad_u64_u32 v[7:8], null, s21, v24, v[4:5]
	v_mov_b32_e32 v4, v10
	v_add_co_u32 v5, s0, v22, v5
	v_lshlrev_b64 v[10:11], 4, v[13:14]
	v_add_co_ci_u32_e64 v6, s0, v23, v6, s0
	v_mad_u64_u32 v[12:13], null, s21, v25, v[4:5]
	v_mov_b32_e32 v18, v7
	v_lshlrev_b64 v[13:14], 4, v[15:16]
	v_add_co_u32 v7, s0, v22, v10
	v_add_co_ci_u32_e64 v8, s0, v23, v11, s0
	v_mov_b32_e32 v10, v12
	v_lshlrev_b64 v[15:16], 4, v[17:18]
	v_add_co_u32 v11, s0, v22, v13
	v_add_co_ci_u32_e64 v12, s0, v23, v14, s0
	v_lshlrev_b64 v[9:10], 4, v[9:10]
	v_add_co_u32 v13, s0, v22, v15
	v_add_co_ci_u32_e64 v14, s0, v23, v16, s0
                                        ; implicit-def: $vgpr24_vgpr25
	v_add_co_u32 v9, s0, v22, v9
	v_add_co_ci_u32_e64 v10, s0, v23, v10, s0
	s_clause 0x4
	global_load_dwordx4 v[44:47], v[5:6], off
	global_load_dwordx4 v[28:31], v[7:8], off
	;; [unrolled: 1-line block ×5, first 2 shown]
                                        ; implicit-def: $vgpr4_vgpr5
	v_cmpx_gt_u32_e32 40, v134
	s_cbranch_execz .LBB0_14
; %bb.13:
	v_add_nc_u32_e32 v20, 0x6e, v134
	v_add_nc_u32_e32 v26, 0x104, v134
	;; [unrolled: 1-line block ×5, first 2 shown]
	v_mad_u64_u32 v[4:5], null, s20, v20, 0
	v_mad_u64_u32 v[6:7], null, s20, v26, 0
	;; [unrolled: 1-line block ×4, first 2 shown]
	v_add_nc_u32_e32 v48, 0x2c6, v134
	v_mad_u64_u32 v[56:57], null, s20, v49, 0
	v_mad_u64_u32 v[20:21], null, s21, v20, v[5:6]
	s_waitcnt vmcnt(0)
	v_mad_u64_u32 v[26:27], null, s21, v26, v[7:8]
	v_add_nc_u32_e32 v64, 0x488, v134
	v_add_nc_u32_e32 v66, 0x51e, v134
	;; [unrolled: 1-line block ×4, first 2 shown]
	v_mov_b32_e32 v5, v20
	v_mad_u64_u32 v[20:21], null, s20, v48, 0
	v_mov_b32_e32 v7, v26
	v_mov_b32_e32 v26, v33
	v_lshlrev_b64 v[4:5], 4, v[4:5]
	v_mad_u64_u32 v[58:59], null, s20, v66, 0
	v_lshlrev_b64 v[6:7], 4, v[6:7]
	v_mad_u64_u32 v[33:34], null, s21, v34, v[25:26]
	v_mad_u64_u32 v[26:27], null, s21, v36, v[26:27]
	v_add_co_u32 v4, s0, v22, v4
	v_add_co_ci_u32_e64 v5, s0, v23, v5, s0
	v_add_co_u32 v34, s0, v22, v6
	v_mov_b32_e32 v25, v33
	v_add_co_ci_u32_e64 v35, s0, v23, v7, s0
	v_mov_b32_e32 v33, v26
	v_mov_b32_e32 v26, v57
	s_clause 0x1
	global_load_dwordx4 v[4:7], v[4:5], off
	global_load_dwordx4 v[36:39], v[34:35], off
	v_lshlrev_b64 v[24:25], 4, v[24:25]
	v_mad_u64_u32 v[34:35], null, s21, v48, v[21:22]
	v_mad_u64_u32 v[26:27], null, s21, v49, v[26:27]
	v_lshlrev_b64 v[32:33], 4, v[32:33]
	v_add_nc_u32_e32 v27, 0x3f2, v134
	v_add_co_u32 v24, s0, v22, v24
	v_add_co_ci_u32_e64 v25, s0, v23, v25, s0
	v_mov_b32_e32 v21, v34
	v_mad_u64_u32 v[34:35], null, s20, v27, 0
	v_add_co_u32 v32, s0, v22, v32
	v_mov_b32_e32 v57, v26
	v_add_co_ci_u32_e64 v33, s0, v23, v33, s0
	s_clause 0x1
	global_load_dwordx4 v[48:51], v[24:25], off
	global_load_dwordx4 v[52:55], v[32:33], off
	v_lshlrev_b64 v[25:26], 4, v[56:57]
	v_mov_b32_e32 v24, v35
	v_lshlrev_b64 v[20:21], 4, v[20:21]
	v_mad_u64_u32 v[56:57], null, s20, v64, 0
	v_mad_u64_u32 v[32:33], null, s21, v27, v[24:25]
	v_add_co_u32 v20, s0, v22, v20
	v_add_co_ci_u32_e64 v21, s0, v23, v21, s0
	v_add_co_u32 v24, s0, v22, v25
	v_add_co_ci_u32_e64 v25, s0, v23, v26, s0
	v_mov_b32_e32 v35, v32
	v_mov_b32_e32 v26, v57
	;; [unrolled: 1-line block ×3, first 2 shown]
	v_mad_u64_u32 v[32:33], null, s20, v67, 0
	s_clause 0x1
	global_load_dwordx4 v[76:79], v[20:21], off
	global_load_dwordx4 v[68:71], v[24:25], off
	v_lshlrev_b64 v[24:25], 4, v[34:35]
	v_mad_u64_u32 v[64:65], null, s21, v64, v[26:27]
	v_mad_u64_u32 v[26:27], null, s21, v66, v[27:28]
	;; [unrolled: 1-line block ×3, first 2 shown]
	v_mov_b32_e32 v20, v33
	v_add_co_u32 v24, s0, v22, v24
	v_mov_b32_e32 v57, v64
	v_mov_b32_e32 v59, v26
	v_mad_u64_u32 v[20:21], null, s21, v67, v[20:21]
	v_mov_b32_e32 v21, v66
	v_lshlrev_b64 v[26:27], 4, v[56:57]
	v_add_co_ci_u32_e64 v25, s0, v23, v25, s0
	v_lshlrev_b64 v[56:57], 4, v[58:59]
	v_mad_u64_u32 v[34:35], null, s21, v88, v[21:22]
	v_mov_b32_e32 v33, v20
	v_add_co_u32 v20, s0, v22, v26
	v_add_co_ci_u32_e64 v21, s0, v23, v27, s0
	v_lshlrev_b64 v[26:27], 4, v[32:33]
	v_mov_b32_e32 v66, v34
	v_add_co_u32 v32, s0, v22, v56
	v_add_co_ci_u32_e64 v33, s0, v23, v57, s0
	v_lshlrev_b64 v[34:35], 4, v[65:66]
	v_add_co_u32 v26, s0, v22, v26
	v_add_co_ci_u32_e64 v27, s0, v23, v27, s0
	v_add_co_u32 v22, s0, v22, v34
	v_add_co_ci_u32_e64 v23, s0, v23, v35, s0
	s_clause 0x4
	global_load_dwordx4 v[64:67], v[24:25], off
	global_load_dwordx4 v[56:59], v[20:21], off
	;; [unrolled: 1-line block ×5, first 2 shown]
.LBB0_14:
	s_or_b32 exec_lo, exec_lo, s6
.LBB0_15:
	s_or_b32 exec_lo, exec_lo, s1
	s_waitcnt vmcnt(0)
	v_add_f64 v[102:103], v[86:87], -v[10:11]
	v_add_f64 v[88:89], v[84:85], v[0:1]
	s_mov_b32 s6, 0x8eee2c13
	s_mov_b32 s8, 0xbb3a28a1
	;; [unrolled: 1-line block ×6, first 2 shown]
	v_add_f64 v[112:113], v[8:9], v[84:85]
	v_add_f64 v[104:105], v[82:83], -v[14:15]
	s_mov_b32 s14, 0xd9c712b6
	s_mov_b32 s16, 0x7f775887
	;; [unrolled: 1-line block ×12, first 2 shown]
	v_mul_f64 v[120:121], v[102:103], s[6:7]
	v_mul_f64 v[122:123], v[102:103], s[20:21]
	;; [unrolled: 1-line block ×3, first 2 shown]
	v_add_f64 v[90:91], v[80:81], v[88:89]
	v_add_f64 v[114:115], v[12:13], v[80:81]
	v_add_f64 v[108:109], v[62:63], -v[18:19]
	v_mul_f64 v[128:129], v[102:103], s[18:19]
	v_add_f64 v[98:99], v[20:21], v[36:37]
	s_mov_b32 s34, 0x9bcd5057
	v_mul_f64 v[132:133], v[104:105], s[8:9]
	v_mul_f64 v[135:136], v[104:105], s[22:23]
	;; [unrolled: 1-line block ×3, first 2 shown]
	s_mov_b32 s24, 0xf8bb580b
	s_mov_b32 s35, 0xbfeeb42a
	;; [unrolled: 1-line block ×7, first 2 shown]
	v_add_f64 v[124:125], v[16:17], v[60:61]
	v_add_f64 v[126:127], v[74:75], -v[30:31]
	v_add_f64 v[92:93], v[38:39], -v[22:23]
	v_fma_f64 v[94:95], v[112:113], s[14:15], v[120:121]
	v_fma_f64 v[100:101], v[112:113], s[30:31], v[122:123]
	;; [unrolled: 1-line block ×3, first 2 shown]
	v_add_f64 v[145:146], v[60:61], v[90:91]
	v_add_f64 v[96:97], v[24:25], v[48:49]
	v_mul_f64 v[143:144], v[108:109], s[22:23]
	v_mul_f64 v[147:148], v[108:109], s[36:37]
	;; [unrolled: 1-line block ×3, first 2 shown]
	v_fma_f64 v[151:152], v[112:113], s[34:35], v[128:129]
	v_fma_f64 v[153:154], v[114:115], s[16:17], v[132:133]
	;; [unrolled: 1-line block ×3, first 2 shown]
	v_mul_f64 v[161:162], v[108:109], s[24:25]
	v_fma_f64 v[163:164], v[114:115], s[30:31], v[137:138]
	v_mul_f64 v[175:176], v[102:103], s[24:25]
	v_fma_f64 v[179:180], v[112:113], s[16:17], -v[106:107]
	v_mul_f64 v[106:107], v[98:99], s[30:31]
	s_mov_b32 s38, 0x8764f0ba
	s_mov_b32 s39, 0x3feaeb8c
	v_add_f64 v[130:131], v[28:29], v[72:73]
	v_add_f64 v[88:89], v[50:51], -v[26:27]
	v_mul_f64 v[169:170], v[126:127], s[24:25]
	v_mul_f64 v[171:172], v[108:109], s[8:9]
	v_add_f64 v[155:156], v[0:1], v[94:95]
	v_add_f64 v[159:160], v[0:1], v[100:101]
	;; [unrolled: 1-line block ×3, first 2 shown]
	v_mul_f64 v[110:111], v[98:99], s[16:17]
	v_add_f64 v[145:146], v[72:73], v[145:146]
	v_add_f64 v[100:101], v[32:33], v[52:53]
	v_mul_f64 v[177:178], v[104:105], s[6:7]
	v_fma_f64 v[181:182], v[114:115], s[38:39], v[149:150]
	v_add_f64 v[151:152], v[0:1], v[151:152]
	v_fma_f64 v[183:184], v[124:125], s[34:35], v[143:144]
	v_mul_f64 v[104:105], v[96:97], s[34:35]
	v_fma_f64 v[185:186], v[124:125], s[38:39], v[161:162]
	v_fma_f64 v[128:129], v[112:113], s[34:35], -v[128:129]
	v_fma_f64 v[120:121], v[112:113], s[14:15], -v[120:121]
	;; [unrolled: 1-line block ×4, first 2 shown]
	v_fma_f64 v[187:188], v[112:113], s[38:39], v[175:176]
	v_add_f64 v[179:180], v[0:1], v[179:180]
	v_fma_f64 v[112:113], v[112:113], s[38:39], -v[175:176]
	v_fma_f64 v[175:176], v[92:93], s[20:21], v[106:107]
	v_add_f64 v[90:91], v[54:55], -v[34:35]
	v_add_f64 v[94:95], v[56:57], v[76:77]
	v_add_f64 v[153:154], v[153:154], v[155:156]
	v_fma_f64 v[155:156], v[124:125], s[14:15], v[147:148]
	v_add_f64 v[157:158], v[157:158], v[159:160]
	v_mul_f64 v[159:160], v[108:109], s[20:21]
	v_add_f64 v[163:164], v[163:164], v[165:166]
	v_mul_f64 v[108:109], v[96:97], s[30:31]
	v_fma_f64 v[189:190], v[92:93], s[8:9], v[110:111]
	v_add_f64 v[145:146], v[40:41], v[145:146]
	v_mul_f64 v[167:168], v[126:127], s[26:27]
	v_mul_f64 v[173:174], v[126:127], s[18:19]
	;; [unrolled: 1-line block ×3, first 2 shown]
	v_add_f64 v[151:152], v[181:182], v[151:152]
	v_fma_f64 v[181:182], v[124:125], s[16:17], v[171:172]
	v_fma_f64 v[149:150], v[114:115], s[38:39], -v[149:150]
	v_fma_f64 v[132:133], v[114:115], s[16:17], -v[132:133]
	;; [unrolled: 1-line block ×3, first 2 shown]
	v_add_f64 v[128:129], v[0:1], v[128:129]
	v_add_f64 v[120:121], v[0:1], v[120:121]
	;; [unrolled: 1-line block ×7, first 2 shown]
	v_fma_f64 v[183:184], v[130:131], s[38:39], v[169:170]
	v_add_f64 v[155:156], v[155:156], v[157:158]
	v_add_f64 v[175:176], v[4:5], v[175:176]
	;; [unrolled: 1-line block ×3, first 2 shown]
	v_fma_f64 v[185:186], v[114:115], s[14:15], v[177:178]
	v_fma_f64 v[114:115], v[114:115], s[14:15], -v[177:178]
	v_fma_f64 v[177:178], v[88:89], s[22:23], v[104:105]
	v_fma_f64 v[179:180], v[88:89], s[26:27], v[108:109]
	v_add_f64 v[189:190], v[4:5], v[189:190]
	v_mul_f64 v[112:113], v[100:101], s[38:39]
	v_add_f64 v[145:146], v[44:45], v[145:146]
	v_add_f64 v[139:140], v[42:43], -v[46:47]
	v_fma_f64 v[165:166], v[130:131], s[30:31], v[167:168]
	v_fma_f64 v[157:158], v[130:131], s[34:35], v[173:174]
	v_add_f64 v[151:152], v[181:182], v[151:152]
	v_mul_f64 v[181:182], v[126:127], s[36:37]
	v_fma_f64 v[161:162], v[124:125], s[38:39], -v[161:162]
	v_add_f64 v[149:150], v[149:150], v[128:129]
	v_fma_f64 v[171:172], v[124:125], s[16:17], -v[171:172]
	v_add_f64 v[120:121], v[132:133], v[120:121]
	v_add_f64 v[122:123], v[135:136], v[122:123]
	v_fma_f64 v[132:133], v[124:125], s[34:35], -v[143:144]
	v_fma_f64 v[135:136], v[124:125], s[14:15], -v[147:148]
	v_add_f64 v[155:156], v[183:184], v[155:156]
	v_fma_f64 v[147:148], v[124:125], s[30:31], v[159:160]
	v_mul_f64 v[126:127], v[126:127], s[8:9]
	v_add_f64 v[143:144], v[185:186], v[187:188]
	v_fma_f64 v[159:160], v[124:125], s[30:31], -v[159:160]
	v_add_f64 v[183:184], v[114:115], v[0:1]
	v_add_f64 v[175:176], v[177:178], v[175:176]
	v_add_f64 v[177:178], v[179:180], v[189:190]
	v_fma_f64 v[179:180], v[90:91], s[36:37], v[102:103]
	v_fma_f64 v[185:186], v[90:91], s[24:25], v[112:113]
	v_add_f64 v[0:1], v[78:79], -v[58:59]
	v_mul_f64 v[114:115], v[94:95], s[38:39]
	v_mul_f64 v[124:125], v[94:95], s[34:35]
	v_add_f64 v[128:129], v[64:65], v[68:69]
	v_add_f64 v[145:146], v[28:29], v[145:146]
	v_add_f64 v[141:142], v[44:45], v[40:41]
	v_add_f64 v[153:154], v[165:166], v[153:154]
	v_mul_f64 v[165:166], v[139:140], s[28:29]
	v_add_f64 v[157:158], v[157:158], v[163:164]
	v_mul_f64 v[163:164], v[139:140], s[8:9]
	v_fma_f64 v[187:188], v[130:131], s[14:15], v[181:182]
	v_add_f64 v[137:138], v[161:162], v[137:138]
	v_mul_f64 v[161:162], v[139:140], s[36:37]
	v_add_f64 v[149:150], v[171:172], v[149:150]
	v_mul_f64 v[171:172], v[139:140], s[20:21]
	v_fma_f64 v[173:174], v[130:131], s[34:35], -v[173:174]
	v_fma_f64 v[181:182], v[130:131], s[14:15], -v[181:182]
	v_add_f64 v[120:121], v[132:133], v[120:121]
	v_add_f64 v[122:123], v[135:136], v[122:123]
	v_fma_f64 v[135:136], v[130:131], s[30:31], -v[167:168]
	v_fma_f64 v[167:168], v[130:131], s[38:39], -v[169:170]
	v_add_f64 v[143:144], v[147:148], v[143:144]
	v_fma_f64 v[147:148], v[130:131], s[16:17], v[126:127]
	v_mul_f64 v[139:140], v[139:140], s[18:19]
	v_fma_f64 v[169:170], v[130:131], s[16:17], -v[126:127]
	v_add_f64 v[159:160], v[159:160], v[183:184]
	v_add_f64 v[175:176], v[179:180], v[175:176]
	;; [unrolled: 1-line block ×3, first 2 shown]
	v_fma_f64 v[179:180], v[0:1], s[24:25], v[114:115]
	v_fma_f64 v[183:184], v[0:1], s[18:19], v[124:125]
	v_add_f64 v[126:127], v[70:71], -v[66:67]
	v_mul_f64 v[130:131], v[128:129], s[16:17]
	v_mul_f64 v[132:133], v[128:129], s[14:15]
	v_add_f64 v[145:146], v[16:17], v[145:146]
	v_fma_f64 v[185:186], v[141:142], s[38:39], v[165:166]
	v_add_f64 v[151:152], v[187:188], v[151:152]
	v_fma_f64 v[187:188], v[141:142], s[16:17], v[163:164]
	;; [unrolled: 2-line block ×4, first 2 shown]
	v_fma_f64 v[161:162], v[141:142], s[14:15], -v[161:162]
	v_fma_f64 v[171:172], v[141:142], s[30:31], -v[171:172]
	v_add_f64 v[120:121], v[135:136], v[120:121]
	v_add_f64 v[122:123], v[167:168], v[122:123]
	v_fma_f64 v[135:136], v[141:142], s[38:39], -v[165:166]
	v_fma_f64 v[163:164], v[141:142], s[16:17], -v[163:164]
	v_add_f64 v[143:144], v[147:148], v[143:144]
	v_fma_f64 v[147:148], v[141:142], s[34:35], v[139:140]
	v_fma_f64 v[139:140], v[141:142], s[34:35], -v[139:140]
	v_add_f64 v[141:142], v[169:170], v[159:160]
	v_add_f64 v[159:160], v[179:180], v[175:176]
	;; [unrolled: 1-line block ×3, first 2 shown]
	v_fma_f64 v[167:168], v[126:127], s[8:9], v[130:131]
	v_fma_f64 v[169:170], v[126:127], s[36:37], v[132:133]
	v_add_f64 v[145:146], v[12:13], v[145:146]
	v_add_f64 v[153:154], v[185:186], v[153:154]
	v_cmp_gt_u32_e64 s1, 40, v134
	v_add_f64 v[155:156], v[187:188], v[155:156]
	v_add_f64 v[157:158], v[173:174], v[157:158]
	;; [unrolled: 1-line block ×7, first 2 shown]
	v_mad_u32_u24 v135, 0x58, v134, 0
	v_add_f64 v[143:144], v[147:148], v[143:144]
	v_add_f64 v[139:140], v[139:140], v[141:142]
	;; [unrolled: 1-line block ×5, first 2 shown]
	ds_write2_b64 v135, v[153:154], v[155:156] offset0:2 offset1:3
	ds_write2_b64 v135, v[157:158], v[151:152] offset0:4 offset1:5
	;; [unrolled: 1-line block ×4, first 2 shown]
	ds_write2_b64 v135, v[145:146], v[143:144] offset1:1
	ds_write_b64 v135, v[139:140] offset:80
	s_and_saveexec_b32 s0, s1
	s_cbranch_execz .LBB0_17
; %bb.16:
	v_add_f64 v[136:137], v[36:37], v[4:5]
	v_mul_f64 v[138:139], v[98:99], s[34:35]
	v_mul_f64 v[140:141], v[92:93], s[8:9]
	;; [unrolled: 1-line block ×10, first 2 shown]
	s_mov_b32 s41, 0x3fe82f19
	s_mov_b32 s40, s8
	v_mul_f64 v[154:155], v[90:91], s[36:37]
	v_mul_f64 v[156:157], v[90:91], s[24:25]
	;; [unrolled: 1-line block ×6, first 2 shown]
	v_add_f64 v[136:137], v[48:49], v[136:137]
	v_fma_f64 v[158:159], v[92:93], s[22:23], v[138:139]
	v_fma_f64 v[138:139], v[92:93], s[18:19], v[138:139]
	v_add_f64 v[110:111], v[110:111], -v[140:141]
	v_fma_f64 v[140:141], v[92:93], s[6:7], v[142:143]
	v_add_f64 v[106:107], v[106:107], -v[144:145]
	v_fma_f64 v[142:143], v[92:93], s[36:37], v[142:143]
	v_fma_f64 v[144:145], v[92:93], s[24:25], v[98:99]
	;; [unrolled: 1-line block ×3, first 2 shown]
	v_mul_f64 v[98:99], v[100:101], s[16:17]
	v_mul_f64 v[100:101], v[100:101], s[30:31]
	v_fma_f64 v[162:163], v[88:89], s[24:25], v[146:147]
	v_fma_f64 v[146:147], v[88:89], s[28:29], v[146:147]
	v_add_f64 v[108:109], v[108:109], -v[148:149]
	v_add_f64 v[104:105], v[104:105], -v[150:151]
	v_fma_f64 v[148:149], v[88:89], s[40:41], v[152:153]
	v_fma_f64 v[150:151], v[88:89], s[8:9], v[152:153]
	;; [unrolled: 1-line block ×4, first 2 shown]
	v_add_f64 v[112:113], v[112:113], -v[156:157]
	v_add_f64 v[102:103], v[102:103], -v[154:155]
	v_fma_f64 v[154:155], v[90:91], s[18:19], v[160:161]
	v_add_f64 v[136:137], v[52:53], v[136:137]
	v_add_f64 v[96:97], v[4:5], v[158:159]
	v_add_f64 v[138:139], v[4:5], v[138:139]
	v_add_f64 v[110:111], v[4:5], v[110:111]
	v_add_f64 v[140:141], v[4:5], v[140:141]
	v_add_f64 v[106:107], v[4:5], v[106:107]
	v_add_f64 v[142:143], v[4:5], v[142:143]
	v_add_f64 v[144:145], v[4:5], v[144:145]
	v_add_f64 v[4:5], v[4:5], v[92:93]
	v_mul_f64 v[92:93], v[0:1], s[24:25]
	v_mul_f64 v[158:159], v[0:1], s[18:19]
	v_fma_f64 v[168:169], v[90:91], s[40:41], v[98:99]
	v_fma_f64 v[98:99], v[90:91], s[8:9], v[98:99]
	;; [unrolled: 1-line block ×5, first 2 shown]
	v_add_f64 v[136:137], v[76:77], v[136:137]
	v_add_f64 v[96:97], v[162:163], v[96:97]
	;; [unrolled: 1-line block ×9, first 2 shown]
	v_mul_f64 v[140:141], v[126:127], s[36:37]
	v_mul_f64 v[142:143], v[128:129], s[30:31]
	;; [unrolled: 1-line block ×3, first 2 shown]
	v_fma_f64 v[146:147], v[0:1], s[6:7], v[164:165]
	v_fma_f64 v[148:149], v[0:1], s[36:37], v[164:165]
	v_add_f64 v[124:125], v[124:125], -v[158:159]
	v_add_f64 v[92:93], v[114:115], -v[92:93]
	v_fma_f64 v[114:115], v[0:1], s[20:21], v[166:167]
	v_fma_f64 v[150:151], v[0:1], s[26:27], v[166:167]
	;; [unrolled: 1-line block ×4, first 2 shown]
	v_mul_f64 v[138:139], v[126:127], s[8:9]
	v_mul_f64 v[128:129], v[128:129], s[34:35]
	v_add_f64 v[136:137], v[68:69], v[136:137]
	v_add_f64 v[94:95], v[168:169], v[96:97]
	v_add_f64 v[96:97], v[98:99], v[100:101]
	v_add_f64 v[98:99], v[112:113], v[108:109]
	v_add_f64 v[100:101], v[156:157], v[110:111]
	v_add_f64 v[102:103], v[102:103], v[104:105]
	v_add_f64 v[104:105], v[154:155], v[106:107]
	v_add_f64 v[88:89], v[90:91], v[88:89]
	v_add_f64 v[4:5], v[160:161], v[4:5]
	v_add_f64 v[110:111], v[132:133], -v[140:141]
	v_fma_f64 v[106:107], v[126:127], s[26:27], v[142:143]
	v_fma_f64 v[108:109], v[126:127], s[20:21], v[142:143]
	;; [unrolled: 1-line block ×3, first 2 shown]
	v_add_f64 v[112:113], v[130:131], -v[138:139]
	v_fma_f64 v[130:131], v[126:127], s[24:25], v[144:145]
	v_add_f64 v[136:137], v[64:65], v[136:137]
	v_add_f64 v[94:95], v[146:147], v[94:95]
	;; [unrolled: 1-line block ×9, first 2 shown]
	v_add_nc_u32_e32 v104, 0x2600, v135
	v_add_nc_u32_e32 v105, 0x2610, v135
	v_add_f64 v[136:137], v[56:57], v[136:137]
	v_add_f64 v[92:93], v[112:113], v[92:93]
	;; [unrolled: 1-line block ×3, first 2 shown]
	v_fma_f64 v[136:137], v[126:127], s[22:23], v[128:129]
	v_fma_f64 v[126:127], v[126:127], s[18:19], v[128:129]
	v_add_f64 v[88:89], v[24:25], v[90:91]
	v_add_f64 v[90:91], v[106:107], v[94:95]
	;; [unrolled: 1-line block ×8, first 2 shown]
	v_add_nc_u32_e32 v102, 0x25e0, v135
	v_add_nc_u32_e32 v103, 0x25f0, v135
	;; [unrolled: 1-line block ×3, first 2 shown]
	v_add_f64 v[88:89], v[20:21], v[88:89]
	ds_write2_b64 v102, v[98:99], v[122:123] offset1:1
	ds_write2_b64 v103, v[120:121], v[94:95] offset1:1
	;; [unrolled: 1-line block ×5, first 2 shown]
	ds_write_b64 v135, v[4:5] offset:9760
.LBB0_17:
	s_or_b32 exec_lo, exec_lo, s0
	v_mad_i32_i24 v124, 0xffffffb0, v134, v135
	s_waitcnt lgkmcnt(0)
	s_barrier
	buffer_gl0_inv
	v_cmp_gt_u32_e64 s0, 55, v134
	v_add_nc_u32_e32 v0, 0x1400, v124
	v_add_nc_u32_e32 v1, 0x1c00, v124
	v_add_nc_u32_e32 v4, 0x400, v124
	v_add_nc_u32_e32 v5, 0x2000, v124
	v_add_nc_u32_e32 v88, 0xc00, v124
	ds_read2_b64 v[100:103], v0 offset0:20 offset1:185
	v_add_nc_u32_e32 v0, 0x2800, v124
	ds_read2_b64 v[104:107], v124 offset1:110
	ds_read2_b64 v[96:99], v1 offset0:39 offset1:149
	ds_read2_b64 v[108:111], v4 offset0:92 offset1:202
	;; [unrolled: 1-line block ×5, first 2 shown]
	s_and_saveexec_b32 s6, s0
	s_cbranch_execz .LBB0_19
; %bb.18:
	ds_read_b64 v[122:123], v124 offset:6160
	ds_read_b64 v[120:121], v124 offset:12760
.LBB0_19:
	s_or_b32 exec_lo, exec_lo, s6
	v_add_f64 v[0:1], v[86:87], v[2:3]
	v_add_f64 v[48:49], v[48:49], -v[24:25]
	v_add_f64 v[24:25], v[52:53], -v[32:33]
	;; [unrolled: 1-line block ×4, first 2 shown]
	v_add_f64 v[60:61], v[30:31], v[74:75]
	v_add_f64 v[127:128], v[72:73], -v[28:29]
	v_add_f64 v[72:73], v[36:37], -v[20:21]
	s_mov_b32 s30, 0xf8bb580b
	s_mov_b32 s28, 0x8eee2c13
	;; [unrolled: 1-line block ×10, first 2 shown]
	v_add_f64 v[86:87], v[10:11], v[86:87]
	v_add_f64 v[80:81], v[80:81], -v[12:13]
	v_add_f64 v[125:126], v[18:19], v[62:63]
	v_add_f64 v[129:130], v[46:47], v[42:43]
	;; [unrolled: 1-line block ×3, first 2 shown]
	v_add_f64 v[131:132], v[40:41], -v[44:45]
	v_add_f64 v[40:41], v[22:23], v[38:39]
	v_add_f64 v[20:21], v[76:77], -v[56:57]
	v_add_f64 v[8:9], v[68:69], -v[64:65]
	v_mul_f64 v[76:77], v[84:85], s[28:29]
	v_mul_f64 v[136:137], v[84:85], s[14:15]
	v_mul_f64 v[138:139], v[84:85], s[24:25]
	v_mul_f64 v[64:65], v[72:73], s[14:15]
	v_mul_f64 v[68:69], v[72:73], s[24:25]
	s_mov_b32 s6, 0x8764f0ba
	s_mov_b32 s8, 0xd9c712b6
	;; [unrolled: 1-line block ×12, first 2 shown]
	v_add_f64 v[32:33], v[62:63], v[0:1]
	v_mul_f64 v[62:63], v[84:85], s[30:31]
	v_mul_f64 v[84:85], v[84:85], s[22:23]
	s_mov_b32 s27, 0x3fe14ced
	s_mov_b32 s38, s22
	;; [unrolled: 1-line block ×5, first 2 shown]
	v_add_f64 v[82:83], v[14:15], v[82:83]
	v_add_f64 v[28:29], v[26:27], v[50:51]
	v_mul_f64 v[140:141], v[80:81], s[28:29]
	v_mul_f64 v[142:143], v[80:81], s[24:25]
	;; [unrolled: 1-line block ×12, first 2 shown]
	v_add_f64 v[74:75], v[74:75], v[32:33]
	v_fma_f64 v[166:167], v[86:87], s[6:7], -v[62:63]
	v_fma_f64 v[62:63], v[86:87], s[6:7], v[62:63]
	v_fma_f64 v[168:169], v[86:87], s[8:9], -v[76:77]
	v_fma_f64 v[76:77], v[86:87], s[8:9], v[76:77]
	;; [unrolled: 2-line block ×4, first 2 shown]
	v_fma_f64 v[184:185], v[40:41], s[16:17], -v[64:65]
	v_fma_f64 v[186:187], v[40:41], s[20:21], -v[68:69]
	v_add_f64 v[12:13], v[34:35], v[54:55]
	v_mul_f64 v[32:33], v[24:25], s[36:37]
	v_mul_f64 v[36:37], v[24:25], s[30:31]
	v_fma_f64 v[174:175], v[82:83], s[20:21], -v[142:143]
	v_fma_f64 v[142:143], v[82:83], s[20:21], v[142:143]
	v_fma_f64 v[176:177], v[82:83], s[18:19], -v[144:145]
	v_fma_f64 v[144:145], v[82:83], s[18:19], v[144:145]
	;; [unrolled: 2-line block ×4, first 2 shown]
	v_add_f64 v[42:43], v[42:43], v[74:75]
	v_fma_f64 v[74:75], v[86:87], s[18:19], -v[84:85]
	v_fma_f64 v[84:85], v[86:87], s[18:19], v[84:85]
	v_fma_f64 v[86:87], v[82:83], s[8:9], -v[140:141]
	v_fma_f64 v[140:141], v[82:83], s[8:9], v[140:141]
	;; [unrolled: 2-line block ×4, first 2 shown]
	v_fma_f64 v[188:189], v[125:126], s[8:9], -v[152:153]
	v_add_f64 v[166:167], v[2:3], v[166:167]
	v_add_f64 v[62:63], v[2:3], v[62:63]
	;; [unrolled: 1-line block ×5, first 2 shown]
	v_fma_f64 v[190:191], v[28:29], s[16:17], -v[56:57]
	v_add_f64 v[184:185], v[6:7], v[184:185]
	v_add_f64 v[186:187], v[6:7], v[186:187]
	;; [unrolled: 1-line block ×3, first 2 shown]
	v_mul_f64 v[158:159], v[127:128], s[24:25]
	v_mul_f64 v[160:161], v[127:128], s[34:35]
	;; [unrolled: 1-line block ×3, first 2 shown]
	v_add_f64 v[42:43], v[46:47], v[42:43]
	v_fma_f64 v[46:47], v[125:126], s[8:9], v[152:153]
	v_add_f64 v[152:153], v[2:3], v[168:169]
	v_add_f64 v[168:169], v[2:3], v[170:171]
	;; [unrolled: 1-line block ×5, first 2 shown]
	v_fma_f64 v[84:85], v[125:126], s[6:7], -v[154:155]
	v_fma_f64 v[154:155], v[125:126], s[6:7], v[154:155]
	v_fma_f64 v[172:173], v[125:126], s[20:21], -v[156:157]
	v_fma_f64 v[125:126], v[125:126], s[20:21], v[156:157]
	v_fma_f64 v[156:157], v[28:29], s[18:19], -v[52:53]
	v_mul_f64 v[164:165], v[127:128], s[22:23]
	v_mul_f64 v[127:128], v[127:128], s[36:37]
	;; [unrolled: 1-line block ×4, first 2 shown]
	v_add_f64 v[86:87], v[86:87], v[166:167]
	v_add_f64 v[62:63], v[140:141], v[62:63]
	;; [unrolled: 1-line block ×5, first 2 shown]
	v_fma_f64 v[166:167], v[12:13], s[8:9], -v[32:33]
	v_add_f64 v[30:31], v[30:31], v[42:43]
	v_add_f64 v[0:1], v[66:67], v[70:71]
	;; [unrolled: 1-line block ×5, first 2 shown]
	v_fma_f64 v[168:169], v[12:13], s[6:7], -v[36:37]
	v_add_f64 v[2:3], v[80:81], v[2:3]
	v_add_f64 v[170:171], v[190:191], v[186:187]
	;; [unrolled: 1-line block ×3, first 2 shown]
	v_fma_f64 v[192:193], v[60:61], s[20:21], -v[158:159]
	v_fma_f64 v[158:159], v[60:61], s[20:21], v[158:159]
	v_add_f64 v[156:157], v[156:157], v[184:185]
	v_fma_f64 v[42:43], v[60:61], s[16:17], -v[160:161]
	v_fma_f64 v[80:81], v[60:61], s[16:17], v[160:161]
	v_fma_f64 v[146:147], v[60:61], s[6:7], -v[162:163]
	v_fma_f64 v[152:153], v[60:61], s[6:7], v[162:163]
	v_fma_f64 v[160:161], v[60:61], s[18:19], -v[164:165]
	v_fma_f64 v[162:163], v[60:61], s[18:19], v[164:165]
	v_fma_f64 v[164:165], v[60:61], s[8:9], -v[127:128]
	v_add_f64 v[82:83], v[82:83], v[86:87]
	v_add_f64 v[62:63], v[148:149], v[62:63]
	;; [unrolled: 1-line block ×4, first 2 shown]
	v_fma_f64 v[30:31], v[60:61], s[8:9], v[127:128]
	v_add_f64 v[60:61], v[182:183], v[140:141]
	v_add_f64 v[86:87], v[188:189], v[142:143]
	;; [unrolled: 1-line block ×6, first 2 shown]
	v_mul_f64 v[136:137], v[131:132], s[22:23]
	v_mul_f64 v[138:139], v[131:132], s[26:27]
	;; [unrolled: 1-line block ×6, first 2 shown]
	v_fma_f64 v[144:145], v[4:5], s[6:7], -v[16:17]
	v_fma_f64 v[148:149], v[4:5], s[18:19], -v[44:45]
	v_add_f64 v[150:151], v[166:167], v[156:157]
	v_add_f64 v[154:155], v[168:169], v[170:171]
	;; [unrolled: 1-line block ×5, first 2 shown]
	s_waitcnt lgkmcnt(0)
	v_add_f64 v[18:19], v[14:15], v[18:19]
	v_mul_f64 v[14:15], v[8:9], s[36:37]
	v_add_f64 v[42:43], v[42:43], v[60:61]
	v_add_f64 v[60:61], v[80:81], v[76:77]
	v_add_f64 v[76:77], v[146:147], v[86:87]
	v_add_f64 v[46:47], v[152:153], v[46:47]
	v_add_f64 v[80:81], v[160:161], v[84:85]
	v_add_f64 v[84:85], v[162:163], v[127:128]
	v_add_f64 v[30:31], v[30:31], v[125:126]
	v_fma_f64 v[86:87], v[129:130], s[18:19], -v[136:137]
	v_fma_f64 v[125:126], v[129:130], s[18:19], v[136:137]
	v_fma_f64 v[127:128], v[129:130], s[6:7], -v[138:139]
	v_fma_f64 v[136:137], v[129:130], s[6:7], v[138:139]
	;; [unrolled: 2-line block ×5, first 2 shown]
	v_add_f64 v[131:132], v[144:145], v[150:151]
	v_add_f64 v[144:145], v[148:149], v[154:155]
	v_fma_f64 v[148:149], v[0:1], s[20:21], -v[2:3]
	v_add_f64 v[74:75], v[164:165], v[74:75]
	v_fma_f64 v[150:151], v[0:1], s[8:9], -v[14:15]
	v_add_f64 v[10:11], v[10:11], v[18:19]
	s_barrier
	buffer_gl0_inv
	v_add_f64 v[18:19], v[86:87], v[82:83]
	v_add_f64 v[82:83], v[125:126], v[62:63]
	;; [unrolled: 1-line block ×12, first 2 shown]
	v_add_nc_u32_e32 v74, 0x6e, v134
	ds_write2_b64 v135, v[42:43], v[76:77] offset0:2 offset1:3
	ds_write2_b64 v135, v[80:81], v[86:87] offset0:4 offset1:5
	;; [unrolled: 1-line block ×3, first 2 shown]
	ds_write2_b64 v135, v[10:11], v[18:19] offset1:1
	ds_write2_b64 v135, v[46:47], v[125:126] offset0:8 offset1:9
	ds_write_b64 v135, v[82:83] offset:80
	s_and_saveexec_b32 s33, s1
	s_cbranch_execz .LBB0_21
; %bb.20:
	v_add_f64 v[10:11], v[38:39], v[6:7]
	v_mul_f64 v[18:19], v[72:73], s[30:31]
	v_mul_f64 v[30:31], v[72:73], s[28:29]
	;; [unrolled: 1-line block ×8, first 2 shown]
	v_add_f64 v[10:11], v[50:51], v[10:11]
	v_mul_f64 v[50:51], v[48:49], s[28:29]
	v_add_f64 v[38:39], v[38:39], v[68:69]
	v_fma_f64 v[68:69], v[40:41], s[18:19], -v[42:43]
	v_fma_f64 v[42:43], v[40:41], s[18:19], v[42:43]
	v_add_f64 v[46:47], v[46:47], v[64:65]
	v_add_f64 v[52:53], v[72:73], v[52:53]
	;; [unrolled: 1-line block ×3, first 2 shown]
	v_mul_f64 v[64:65], v[12:13], s[6:7]
	v_fma_f64 v[127:128], v[12:13], s[18:19], -v[81:82]
	v_fma_f64 v[81:82], v[12:13], s[18:19], v[81:82]
	v_add_f64 v[10:11], v[54:55], v[10:11]
	v_mul_f64 v[54:55], v[48:49], s[24:25]
	v_mul_f64 v[48:49], v[48:49], s[26:27]
	v_fma_f64 v[83:84], v[28:29], s[8:9], -v[50:51]
	v_fma_f64 v[50:51], v[28:29], s[8:9], v[50:51]
	v_add_f64 v[38:39], v[6:7], v[38:39]
	v_add_f64 v[68:69], v[6:7], v[68:69]
	;; [unrolled: 1-line block ×6, first 2 shown]
	v_fma_f64 v[77:78], v[40:41], s[6:7], -v[18:19]
	v_fma_f64 v[79:80], v[40:41], s[8:9], -v[30:31]
	v_fma_f64 v[30:31], v[40:41], s[8:9], v[30:31]
	v_fma_f64 v[18:19], v[40:41], s[6:7], v[18:19]
	v_mul_f64 v[40:41], v[12:13], s[8:9]
	v_fma_f64 v[85:86], v[28:29], s[20:21], -v[54:55]
	v_fma_f64 v[54:55], v[28:29], s[20:21], v[54:55]
	v_fma_f64 v[72:73], v[28:29], s[6:7], -v[48:49]
	v_fma_f64 v[28:29], v[28:29], s[6:7], v[48:49]
	v_add_f64 v[38:39], v[56:57], v[38:39]
	v_mul_f64 v[56:57], v[8:9], s[26:27]
	v_add_f64 v[10:11], v[70:71], v[10:11]
	v_mul_f64 v[70:71], v[24:25], s[14:15]
	v_mul_f64 v[24:25], v[24:25], s[24:25]
	v_add_f64 v[48:49], v[6:7], v[77:78]
	v_add_f64 v[75:76], v[6:7], v[79:80]
	;; [unrolled: 1-line block ×4, first 2 shown]
	v_mul_f64 v[18:19], v[4:5], s[6:7]
	v_mul_f64 v[77:78], v[20:21], s[24:25]
	;; [unrolled: 1-line block ×4, first 2 shown]
	v_add_f64 v[32:33], v[40:41], v[32:33]
	v_add_f64 v[28:29], v[28:29], v[42:43]
	;; [unrolled: 1-line block ×3, first 2 shown]
	v_mul_f64 v[46:47], v[0:1], s[20:21]
	v_mul_f64 v[52:53], v[8:9], s[22:23]
	;; [unrolled: 1-line block ×3, first 2 shown]
	v_add_f64 v[36:37], v[36:37], v[38:39]
	v_add_f64 v[10:11], v[66:67], v[10:11]
	v_mul_f64 v[66:67], v[4:5], s[18:19]
	v_fma_f64 v[125:126], v[12:13], s[16:17], -v[70:71]
	v_fma_f64 v[70:71], v[12:13], s[16:17], v[70:71]
	v_fma_f64 v[40:41], v[12:13], s[20:21], -v[24:25]
	v_fma_f64 v[12:13], v[12:13], s[20:21], v[24:25]
	v_add_f64 v[24:25], v[83:84], v[48:49]
	v_add_f64 v[48:49], v[85:86], v[75:76]
	v_add_f64 v[30:31], v[54:55], v[30:31]
	v_add_f64 v[54:55], v[72:73], v[68:69]
	v_add_f64 v[6:7], v[50:51], v[6:7]
	v_fma_f64 v[64:65], v[4:5], s[20:21], v[77:78]
	v_fma_f64 v[68:69], v[4:5], s[16:17], -v[79:80]
	v_fma_f64 v[72:73], v[4:5], s[16:17], v[79:80]
	v_add_f64 v[16:17], v[18:19], v[16:17]
	v_mul_f64 v[50:51], v[0:1], s[8:9]
	v_add_f64 v[2:3], v[46:47], v[2:3]
	v_fma_f64 v[46:47], v[0:1], s[16:17], -v[8:9]
	v_add_f64 v[10:11], v[58:59], v[10:11]
	v_fma_f64 v[58:59], v[4:5], s[20:21], -v[77:78]
	;; [unrolled: 2-line block ×3, first 2 shown]
	v_fma_f64 v[4:5], v[4:5], s[8:9], v[20:21]
	v_add_f64 v[12:13], v[12:13], v[28:29]
	v_add_f64 v[20:21], v[125:126], v[24:25]
	;; [unrolled: 1-line block ×7, first 2 shown]
	v_fma_f64 v[32:33], v[0:1], s[18:19], -v[52:53]
	v_fma_f64 v[40:41], v[0:1], s[6:7], -v[56:57]
	v_fma_f64 v[42:43], v[0:1], s[6:7], v[56:57]
	v_add_f64 v[14:15], v[50:51], v[14:15]
	v_add_f64 v[10:11], v[34:35], v[10:11]
	v_fma_f64 v[34:35], v[0:1], s[18:19], v[52:53]
	v_fma_f64 v[0:1], v[0:1], s[16:17], v[8:9]
	v_add_f64 v[18:19], v[18:19], v[36:37]
	v_add_f64 v[4:5], v[4:5], v[12:13]
	;; [unrolled: 1-line block ×18, first 2 shown]
	v_mad_u32_u24 v10, 0x58, v74, 0
	ds_write2_b64 v10, v[16:17], v[60:61] offset0:2 offset1:3
	ds_write2_b64 v10, v[62:63], v[18:19] offset0:4 offset1:5
	;; [unrolled: 1-line block ×4, first 2 shown]
	ds_write2_b64 v10, v[4:5], v[8:9] offset1:1
	ds_write_b64 v10, v[6:7] offset:80
.LBB0_21:
	s_or_b32 exec_lo, exec_lo, s33
	v_add_nc_u32_e32 v0, 0x1400, v124
	s_waitcnt lgkmcnt(0)
	s_barrier
	buffer_gl0_inv
	ds_read2_b64 v[20:23], v124 offset1:110
	ds_read2_b64 v[8:11], v0 offset0:20 offset1:185
	v_add_nc_u32_e32 v0, 0x1c00, v124
	v_add_nc_u32_e32 v4, 0x400, v124
	;; [unrolled: 1-line block ×5, first 2 shown]
	ds_read2_b64 v[0:3], v0 offset0:39 offset1:149
	ds_read2_b64 v[24:27], v4 offset0:92 offset1:202
	;; [unrolled: 1-line block ×5, first 2 shown]
	s_and_saveexec_b32 s1, s0
	s_cbranch_execz .LBB0_23
; %bb.22:
	ds_read_b64 v[60:61], v124 offset:6160
	ds_read_b64 v[62:63], v124 offset:12760
.LBB0_23:
	s_or_b32 exec_lo, exec_lo, s1
	v_and_b32_e32 v16, 0xff, v134
	v_and_b32_e32 v65, 0xff, v74
	v_add_nc_u32_e32 v64, 0xdc, v134
	v_mov_b32_e32 v32, 0xba2f
	v_add_nc_u32_e32 v67, 0x14a, v134
	v_mul_lo_u16 v16, 0x75, v16
	v_mul_lo_u16 v17, 0x75, v65
	v_add_nc_u32_e32 v66, 0x1b8, v134
	v_mul_u32_u24_sdwa v34, v64, v32 dst_sel:DWORD dst_unused:UNUSED_PAD src0_sel:WORD_0 src1_sel:DWORD
	v_add_nc_u32_e32 v18, 0x226, v134
	v_lshrrev_b16 v16, 8, v16
	v_lshrrev_b16 v17, 8, v17
	v_add_nc_u32_e32 v19, 0x294, v134
	v_lshrrev_b32_e32 v73, 19, v34
	v_mul_u32_u24_sdwa v37, v67, v32 dst_sel:DWORD dst_unused:UNUSED_PAD src0_sel:WORD_0 src1_sel:DWORD
	v_sub_nc_u16 v35, v134, v16
	v_sub_nc_u16 v36, v74, v17
	v_mul_u32_u24_sdwa v38, v66, v32 dst_sel:DWORD dst_unused:UNUSED_PAD src0_sel:WORD_0 src1_sel:DWORD
	v_mul_u32_u24_sdwa v39, v18, v32 dst_sel:DWORD dst_unused:UNUSED_PAD src0_sel:WORD_0 src1_sel:DWORD
	v_mul_u32_u24_sdwa v40, v19, v32 dst_sel:DWORD dst_unused:UNUSED_PAD src0_sel:WORD_0 src1_sel:DWORD
	v_lshrrev_b16 v35, 1, v35
	v_lshrrev_b16 v36, 1, v36
	v_lshrrev_b32_e32 v87, 19, v37
	v_lshrrev_b32_e32 v131, 19, v38
	v_lshrrev_b32_e32 v132, 19, v39
	v_and_b32_e32 v34, 0x7f, v35
	v_and_b32_e32 v35, 0x7f, v36
	v_lshrrev_b32_e32 v133, 19, v40
	v_mul_lo_u16 v36, v131, 11
	v_mov_b32_e32 v33, 4
	v_add_nc_u16 v16, v34, v16
	v_add_nc_u16 v17, v35, v17
	v_mul_lo_u16 v34, v73, 11
	v_mul_lo_u16 v35, v87, 11
	v_sub_nc_u16 v139, v66, v36
	v_lshrrev_b16 v135, 3, v16
	v_lshrrev_b16 v136, 3, v17
	v_sub_nc_u16 v137, v64, v34
	v_mul_lo_u16 v16, v132, 11
	v_mul_lo_u16 v17, v133, 11
	;; [unrolled: 1-line block ×4, first 2 shown]
	v_sub_nc_u16 v138, v67, v35
	v_sub_nc_u16 v140, v18, v16
	;; [unrolled: 1-line block ×5, first 2 shown]
	v_lshlrev_b32_sdwa v34, v33, v137 dst_sel:DWORD dst_unused:UNUSED_PAD src0_sel:DWORD src1_sel:WORD_0
	v_lshlrev_b32_sdwa v35, v33, v138 dst_sel:DWORD dst_unused:UNUSED_PAD src0_sel:DWORD src1_sel:WORD_0
	;; [unrolled: 1-line block ×3, first 2 shown]
	v_lshlrev_b32_sdwa v16, v33, v141 dst_sel:DWORD dst_unused:UNUSED_PAD src0_sel:DWORD src1_sel:BYTE_0
	v_lshlrev_b32_sdwa v36, v33, v142 dst_sel:DWORD dst_unused:UNUSED_PAD src0_sel:DWORD src1_sel:BYTE_0
	v_lshlrev_b32_sdwa v52, v33, v140 dst_sel:DWORD dst_unused:UNUSED_PAD src0_sel:DWORD src1_sel:WORD_0
	v_lshlrev_b32_sdwa v56, v33, v143 dst_sel:DWORD dst_unused:UNUSED_PAD src0_sel:DWORD src1_sel:WORD_0
	s_clause 0x6
	global_load_dwordx4 v[16:19], v16, s[12:13]
	global_load_dwordx4 v[36:39], v36, s[12:13]
	global_load_dwordx4 v[40:43], v34, s[12:13]
	global_load_dwordx4 v[44:47], v35, s[12:13]
	global_load_dwordx4 v[48:51], v48, s[12:13]
	global_load_dwordx4 v[52:55], v52, s[12:13]
	global_load_dwordx4 v[56:59], v56, s[12:13]
	v_add_nc_u32_e32 v34, 0x302, v134
	v_mul_u32_u24_sdwa v32, v34, v32 dst_sel:DWORD dst_unused:UNUSED_PAD src0_sel:WORD_0 src1_sel:DWORD
	v_lshrrev_b32_e32 v144, 19, v32
	v_mul_lo_u16 v32, v144, 11
	v_sub_nc_u16 v68, v34, v32
	v_lshlrev_b32_sdwa v32, v33, v68 dst_sel:DWORD dst_unused:UNUSED_PAD src0_sel:DWORD src1_sel:WORD_0
	global_load_dwordx4 v[32:35], v32, s[12:13]
	s_waitcnt vmcnt(0) lgkmcnt(0)
	s_barrier
	buffer_gl0_inv
	v_mul_f64 v[69:70], v[10:11], v[18:19]
	v_mul_f64 v[71:72], v[0:1], v[38:39]
	;; [unrolled: 1-line block ×7, first 2 shown]
	v_fma_f64 v[69:70], v[102:103], v[16:17], v[69:70]
	v_fma_f64 v[71:72], v[96:97], v[36:37], v[71:72]
	;; [unrolled: 1-line block ×7, first 2 shown]
	v_add_f64 v[85:86], v[104:105], -v[69:70]
	v_add_f64 v[125:126], v[106:107], -v[71:72]
	;; [unrolled: 1-line block ×7, first 2 shown]
	v_mov_b32_e32 v78, 3
	v_mov_b32_e32 v72, 0xb0
	v_mul_u32_u24_e32 v70, 0xb0, v73
	v_mul_u32_u24_e32 v71, 0xb0, v87
	;; [unrolled: 1-line block ×3, first 2 shown]
	v_lshlrev_b32_sdwa v77, v78, v137 dst_sel:DWORD dst_unused:UNUSED_PAD src0_sel:DWORD src1_sel:WORD_0
	v_lshlrev_b32_sdwa v87, v78, v138 dst_sel:DWORD dst_unused:UNUSED_PAD src0_sel:DWORD src1_sel:WORD_0
	v_mul_u32_u24_e32 v75, 0xb0, v132
	v_mul_u32_u24_e32 v76, 0xb0, v133
	v_lshlrev_b32_sdwa v131, v78, v139 dst_sel:DWORD dst_unused:UNUSED_PAD src0_sel:DWORD src1_sel:WORD_0
	v_lshlrev_b32_sdwa v132, v78, v140 dst_sel:DWORD dst_unused:UNUSED_PAD src0_sel:DWORD src1_sel:WORD_0
	;; [unrolled: 1-line block ×3, first 2 shown]
	v_add3_u32 v70, 0, v70, v77
	v_add3_u32 v71, 0, v71, v87
	v_mul_u32_u24_sdwa v77, v135, v72 dst_sel:DWORD dst_unused:UNUSED_PAD src0_sel:WORD_0 src1_sel:DWORD
	v_fma_f64 v[104:105], v[104:105], 2.0, -v[85:86]
	v_fma_f64 v[106:107], v[106:107], 2.0, -v[125:126]
	;; [unrolled: 1-line block ×7, first 2 shown]
	v_mul_u32_u24_sdwa v87, v136, v72 dst_sel:DWORD dst_unused:UNUSED_PAD src0_sel:WORD_0 src1_sel:DWORD
	v_lshlrev_b32_sdwa v135, v78, v141 dst_sel:DWORD dst_unused:UNUSED_PAD src0_sel:DWORD src1_sel:BYTE_0
	v_lshlrev_b32_sdwa v136, v78, v142 dst_sel:DWORD dst_unused:UNUSED_PAD src0_sel:DWORD src1_sel:BYTE_0
	v_mul_lo_u16 v69, v144, 22
	v_add3_u32 v72, 0, v73, v131
	v_add3_u32 v73, 0, v75, v132
	;; [unrolled: 1-line block ×5, first 2 shown]
	ds_write2_b64 v76, v[104:105], v[85:86] offset1:11
	ds_write2_b64 v77, v[106:107], v[125:126] offset1:11
	;; [unrolled: 1-line block ×7, first 2 shown]
	s_and_saveexec_b32 s1, s0
	s_cbranch_execz .LBB0_25
; %bb.24:
	v_mul_f64 v[79:80], v[62:63], v[34:35]
	v_lshlrev_b32_sdwa v83, v78, v68 dst_sel:DWORD dst_unused:UNUSED_PAD src0_sel:DWORD src1_sel:WORD_0
	v_lshlrev_b32_sdwa v78, v78, v69 dst_sel:DWORD dst_unused:UNUSED_PAD src0_sel:DWORD src1_sel:WORD_0
	v_add3_u32 v78, 0, v83, v78
	v_fma_f64 v[79:80], v[120:121], v[32:33], v[79:80]
	v_add_f64 v[79:80], v[122:123], -v[79:80]
	v_fma_f64 v[81:82], v[122:123], 2.0, -v[79:80]
	ds_write2_b64 v78, v[81:82], v[79:80] offset1:11
.LBB0_25:
	s_or_b32 exec_lo, exec_lo, s1
	v_mul_f64 v[18:19], v[102:103], v[18:19]
	v_mul_f64 v[38:39], v[96:97], v[38:39]
	;; [unrolled: 1-line block ×7, first 2 shown]
	s_waitcnt lgkmcnt(0)
	s_barrier
	buffer_gl0_inv
	v_fma_f64 v[10:11], v[10:11], v[16:17], -v[18:19]
	v_fma_f64 v[0:1], v[0:1], v[36:37], -v[38:39]
	;; [unrolled: 1-line block ×7, first 2 shown]
	v_add_nc_u32_e32 v40, 0xc00, v124
	v_add_nc_u32_e32 v44, 0x400, v124
	;; [unrolled: 1-line block ×6, first 2 shown]
	v_add_f64 v[36:37], v[20:21], -v[10:11]
	v_add_f64 v[46:47], v[22:23], -v[0:1]
	;; [unrolled: 1-line block ×7, first 2 shown]
	ds_read2_b64 v[0:3], v124 offset1:110
	ds_read_b64 v[38:39], v124 offset:12320
	ds_read2_b64 v[4:7], v40 offset0:56 offset1:166
	ds_read2_b64 v[16:19], v41 offset0:76 offset1:186
	;; [unrolled: 1-line block ×3, first 2 shown]
	v_fma_f64 v[58:59], v[20:21], 2.0, -v[36:37]
	v_fma_f64 v[78:79], v[22:23], 2.0, -v[46:47]
	;; [unrolled: 1-line block ×5, first 2 shown]
	ds_read2_b64 v[8:11], v44 offset0:92 offset1:202
	ds_read2_b64 v[24:27], v43 offset0:40 offset1:150
	;; [unrolled: 1-line block ×3, first 2 shown]
	v_fma_f64 v[28:29], v[28:29], 2.0, -v[52:53]
	v_fma_f64 v[30:31], v[30:31], 2.0, -v[54:55]
	s_waitcnt lgkmcnt(0)
	s_barrier
	buffer_gl0_inv
	ds_write2_b64 v76, v[58:59], v[36:37] offset1:11
	ds_write2_b64 v77, v[78:79], v[46:47] offset1:11
	;; [unrolled: 1-line block ×7, first 2 shown]
	s_and_saveexec_b32 s1, s0
	s_cbranch_execz .LBB0_27
; %bb.26:
	v_mul_f64 v[28:29], v[120:121], v[34:35]
	v_fma_f64 v[28:29], v[62:63], v[32:33], -v[28:29]
	v_mov_b32_e32 v32, 3
	v_lshlrev_b32_sdwa v33, v32, v68 dst_sel:DWORD dst_unused:UNUSED_PAD src0_sel:DWORD src1_sel:WORD_0
	v_lshlrev_b32_sdwa v32, v32, v69 dst_sel:DWORD dst_unused:UNUSED_PAD src0_sel:DWORD src1_sel:WORD_0
	v_add3_u32 v32, 0, v33, v32
	v_add_f64 v[28:29], v[60:61], -v[28:29]
	v_fma_f64 v[30:31], v[60:61], 2.0, -v[28:29]
	ds_write2_b64 v32, v[30:31], v[28:29] offset1:11
.LBB0_27:
	s_or_b32 exec_lo, exec_lo, s1
	v_lshrrev_b16 v28, 1, v134
	v_lshrrev_b16 v29, 1, v65
	v_mov_b32_e32 v30, 0xba2f
	v_mov_b32_e32 v33, 5
	s_waitcnt lgkmcnt(0)
	v_and_b32_e32 v28, 0x7f, v28
	v_mul_lo_u16 v29, 0xbb, v29
	v_mul_u32_u24_sdwa v31, v67, v30 dst_sel:DWORD dst_unused:UNUSED_PAD src0_sel:WORD_0 src1_sel:DWORD
	s_barrier
	buffer_gl0_inv
	v_mul_lo_u16 v28, 0xbb, v28
	v_lshrrev_b16 v35, 11, v29
	v_mul_u32_u24_sdwa v29, v64, v30 dst_sel:DWORD dst_unused:UNUSED_PAD src0_sel:WORD_0 src1_sel:DWORD
	v_mul_u32_u24_sdwa v30, v66, v30 dst_sel:DWORD dst_unused:UNUSED_PAD src0_sel:WORD_0 src1_sel:DWORD
	v_lshrrev_b32_e32 v115, 20, v31
	v_lshrrev_b16 v62, 11, v28
	v_mul_lo_u16 v28, v35, 22
	v_lshrrev_b32_e32 v63, 20, v29
	v_lshrrev_b32_e32 v121, 20, v30
	v_mul_lo_u16 v30, v115, 22
	v_mul_lo_u16 v29, v62, 22
	v_sub_nc_u16 v120, v74, v28
	v_mul_lo_u16 v28, v63, 22
	v_mul_lo_u16 v36, v121, 22
	v_sub_nc_u16 v125, v67, v30
	v_sub_nc_u16 v122, v134, v29
	v_lshlrev_b32_sdwa v34, v33, v120 dst_sel:DWORD dst_unused:UNUSED_PAD src0_sel:DWORD src1_sel:BYTE_0
	v_sub_nc_u16 v123, v64, v28
	v_sub_nc_u16 v126, v66, v36
	v_add_nc_u32_e32 v36, 0xffffffbe, v134
	v_lshlrev_b32_sdwa v28, v33, v122 dst_sel:DWORD dst_unused:UNUSED_PAD src0_sel:DWORD src1_sel:BYTE_0
	s_clause 0x1
	global_load_dwordx4 v[29:32], v34, s[12:13] offset:192
	global_load_dwordx4 v[46:49], v34, s[12:13] offset:176
	v_lshlrev_b32_sdwa v34, v33, v123 dst_sel:DWORD dst_unused:UNUSED_PAD src0_sel:DWORD src1_sel:WORD_0
	v_cmp_gt_u32_e64 s0, 0x42, v134
	v_mul_lo_u16 v65, 0xf9, v65
	s_clause 0x1
	global_load_dwordx4 v[50:53], v28, s[12:13] offset:192
	global_load_dwordx4 v[54:57], v28, s[12:13] offset:176
	v_lshlrev_b32_sdwa v28, v33, v125 dst_sel:DWORD dst_unused:UNUSED_PAD src0_sel:DWORD src1_sel:WORD_0
	v_lshlrev_b32_sdwa v33, v33, v126 dst_sel:DWORD dst_unused:UNUSED_PAD src0_sel:DWORD src1_sel:WORD_0
	s_clause 0x5
	global_load_dwordx4 v[58:61], v34, s[12:13] offset:176
	global_load_dwordx4 v[66:69], v34, s[12:13] offset:192
	global_load_dwordx4 v[70:73], v28, s[12:13] offset:176
	global_load_dwordx4 v[75:78], v28, s[12:13] offset:192
	global_load_dwordx4 v[79:82], v33, s[12:13] offset:176
	global_load_dwordx4 v[83:86], v33, s[12:13] offset:192
	v_mov_b32_e32 v128, 0xf83f
	v_cndmask_b32_e64 v133, v36, v134, s0
	ds_read2_b64 v[87:90], v124 offset1:110
	ds_read2_b64 v[91:94], v40 offset0:56 offset1:166
	ds_read2_b64 v[95:98], v41 offset0:76 offset1:186
	;; [unrolled: 1-line block ×6, first 2 shown]
	ds_read_b64 v[33:34], v124 offset:12320
	v_mov_b32_e32 v127, 0x210
	v_mov_b32_e32 v37, 0
	v_lshrrev_b16 v141, 14, v65
	v_mul_u32_u24_sdwa v65, v64, v128 dst_sel:DWORD dst_unused:UNUSED_PAD src0_sel:WORD_0 src1_sel:DWORD
	v_lshlrev_b32_e32 v36, 2, v133
	v_mov_b32_e32 v28, 3
	v_mul_u32_u24_sdwa v146, v62, v127 dst_sel:DWORD dst_unused:UNUSED_PAD src0_sel:WORD_0 src1_sel:DWORD
	v_mul_u32_u24_e32 v129, 0x210, v63
	v_lshrrev_b32_e32 v143, 22, v65
	v_mul_u32_u24_sdwa v65, v35, v127 dst_sel:DWORD dst_unused:UNUSED_PAD src0_sel:WORD_0 src1_sel:DWORD
	v_lshlrev_b64 v[35:36], 4, v[36:37]
	v_mul_u32_u24_e32 v115, 0x210, v115
	v_mul_lo_u16 v128, 0x42, v141
	v_lshlrev_b32_sdwa v147, v28, v126 dst_sel:DWORD dst_unused:UNUSED_PAD src0_sel:DWORD src1_sel:WORD_0
	v_lshlrev_b32_sdwa v148, v28, v122 dst_sel:DWORD dst_unused:UNUSED_PAD src0_sel:DWORD src1_sel:BYTE_0
	v_mul_u32_u24_e32 v144, 0x210, v121
	v_add_co_u32 v62, s0, s12, v35
	v_add_co_ci_u32_e64 v63, s0, s13, v36, s0
	v_lshlrev_b32_sdwa v35, v28, v120 dst_sel:DWORD dst_unused:UNUSED_PAD src0_sel:DWORD src1_sel:BYTE_0
	v_lshlrev_b32_sdwa v36, v28, v123 dst_sel:DWORD dst_unused:UNUSED_PAD src0_sel:DWORD src1_sel:WORD_0
	v_lshlrev_b32_sdwa v120, v28, v125 dst_sel:DWORD dst_unused:UNUSED_PAD src0_sel:DWORD src1_sel:WORD_0
	v_sub_nc_u16 v145, v74, v128
	s_mov_b32 s6, 0xe8584caa
	v_add3_u32 v149, 0, v65, v35
	v_add3_u32 v150, 0, v129, v36
	;; [unrolled: 1-line block ×3, first 2 shown]
	s_mov_b32 s7, 0xbfebb67a
	s_mov_b32 s9, 0x3febb67a
	;; [unrolled: 1-line block ×3, first 2 shown]
	v_mov_b32_e32 v142, 6
	v_add3_u32 v144, 0, v144, v147
	s_waitcnt vmcnt(0) lgkmcnt(0)
	s_barrier
	buffer_gl0_inv
	v_cmp_lt_u32_e64 s0, 0x41, v134
	s_mov_b32 s14, 0x134454ff
	s_mov_b32 s15, 0xbfee6f0e
	s_mov_b32 s17, 0x3fee6f0e
	s_mov_b32 s16, s14
	s_mov_b32 s1, 0x3fe2cf23
	v_mul_f64 v[120:121], v[97:98], v[31:32]
	v_mul_f64 v[35:36], v[99:100], v[48:49]
	v_mul_f64 v[48:49], v[12:13], v[48:49]
	v_mul_f64 v[31:32], v[18:19], v[31:32]
	v_mul_f64 v[125:126], v[95:96], v[52:53]
	v_mul_f64 v[122:123], v[93:94], v[56:57]
	v_mul_f64 v[56:57], v[6:7], v[56:57]
	v_mul_f64 v[131:132], v[111:112], v[72:73]
	v_mul_f64 v[72:73], v[20:21], v[72:73]
	v_mul_f64 v[52:53], v[16:17], v[52:53]
	v_mul_f64 v[127:128], v[101:102], v[60:61]
	v_mul_f64 v[60:61], v[14:15], v[60:61]
	v_mul_f64 v[129:130], v[107:108], v[68:69]
	v_mul_f64 v[68:69], v[24:25], v[68:69]
	v_mul_f64 v[135:136], v[109:110], v[77:78]
	v_mul_f64 v[77:78], v[26:27], v[77:78]
	v_mul_f64 v[137:138], v[113:114], v[81:82]
	v_mul_f64 v[139:140], v[33:34], v[85:86]
	v_mul_f64 v[81:82], v[22:23], v[81:82]
	v_mul_f64 v[85:86], v[38:39], v[85:86]
	v_fma_f64 v[18:19], v[18:19], v[29:30], v[120:121]
	v_fma_f64 v[12:13], v[12:13], v[46:47], v[35:36]
	v_fma_f64 v[35:36], v[99:100], v[46:47], -v[48:49]
	v_fma_f64 v[29:30], v[97:98], v[29:30], -v[31:32]
	v_fma_f64 v[16:17], v[16:17], v[50:51], v[125:126]
	v_fma_f64 v[6:7], v[6:7], v[54:55], v[122:123]
	v_fma_f64 v[54:55], v[93:94], v[54:55], -v[56:57]
	v_fma_f64 v[20:21], v[20:21], v[70:71], v[131:132]
	v_fma_f64 v[48:49], v[111:112], v[70:71], -v[72:73]
	v_fma_f64 v[50:51], v[95:96], v[50:51], -v[52:53]
	v_fma_f64 v[14:15], v[14:15], v[58:59], v[127:128]
	v_fma_f64 v[31:32], v[101:102], v[58:59], -v[60:61]
	v_fma_f64 v[24:25], v[24:25], v[66:67], v[129:130]
	;; [unrolled: 2-line block ×4, first 2 shown]
	v_fma_f64 v[38:39], v[38:39], v[83:84], v[139:140]
	v_fma_f64 v[60:61], v[113:114], v[79:80], -v[81:82]
	v_fma_f64 v[33:34], v[33:34], v[83:84], -v[85:86]
	v_add3_u32 v73, 0, v146, v148
	v_mul_u32_u24_e32 v120, 0xa50, v143
	v_lshlrev_b32_sdwa v121, v28, v145 dst_sel:DWORD dst_unused:UNUSED_PAD src0_sel:DWORD src1_sel:BYTE_0
	v_add_f64 v[52:53], v[2:3], v[12:13]
	v_add_f64 v[56:57], v[12:13], v[18:19]
	v_add_f64 v[65:66], v[35:36], -v[29:30]
	v_add_f64 v[67:68], v[89:90], v[35:36]
	v_add_f64 v[69:70], v[6:7], v[16:17]
	;; [unrolled: 1-line block ×3, first 2 shown]
	v_add_f64 v[12:13], v[12:13], -v[18:19]
	v_add_f64 v[95:96], v[105:106], v[48:49]
	v_add_f64 v[109:110], v[54:55], v[50:51]
	;; [unrolled: 1-line block ×5, first 2 shown]
	v_add_f64 v[77:78], v[31:32], -v[46:47]
	v_add_f64 v[31:32], v[31:32], v[46:47]
	v_add_f64 v[79:80], v[20:21], v[26:27]
	v_add_f64 v[93:94], v[48:49], -v[58:59]
	v_add_f64 v[48:49], v[48:49], v[58:59]
	v_add_f64 v[83:84], v[22:23], v[38:39]
	;; [unrolled: 1-line block ×3, first 2 shown]
	v_add_f64 v[111:112], v[54:55], -v[50:51]
	v_add_f64 v[54:55], v[87:88], v[54:55]
	v_add_f64 v[6:7], v[6:7], -v[16:17]
	v_add_f64 v[18:19], v[52:53], v[18:19]
	v_fma_f64 v[2:3], v[56:57], -0.5, v[2:3]
	v_add_f64 v[71:72], v[8:9], v[14:15]
	v_add_f64 v[14:15], v[14:15], -v[24:25]
	v_fma_f64 v[0:1], v[69:70], -0.5, v[0:1]
	v_fma_f64 v[35:36], v[35:36], -0.5, v[89:90]
	v_add_f64 v[99:100], v[60:61], -v[33:34]
	v_add_f64 v[52:53], v[95:96], v[58:59]
	v_fma_f64 v[58:59], v[109:110], -0.5, v[87:88]
	v_add_f64 v[60:61], v[91:92], v[60:61]
	v_add_f64 v[85:86], v[10:11], v[20:21]
	v_fma_f64 v[8:9], v[75:76], -0.5, v[8:9]
	v_add_f64 v[20:21], v[20:21], -v[26:27]
	v_fma_f64 v[31:32], v[31:32], -0.5, v[103:104]
	v_fma_f64 v[10:11], v[79:80], -0.5, v[10:11]
	v_add_f64 v[97:98], v[4:5], v[22:23]
	v_fma_f64 v[48:49], v[48:49], -0.5, v[105:106]
	v_add_f64 v[22:23], v[22:23], -v[38:39]
	v_fma_f64 v[4:5], v[83:84], -0.5, v[4:5]
	v_fma_f64 v[56:57], v[101:102], -0.5, v[91:92]
	v_add_f64 v[29:30], v[67:68], v[29:30]
	v_add_f64 v[46:47], v[81:82], v[46:47]
	;; [unrolled: 1-line block ×4, first 2 shown]
	v_fma_f64 v[69:70], v[65:66], s[6:7], v[2:3]
	v_fma_f64 v[2:3], v[65:66], s[8:9], v[2:3]
	;; [unrolled: 1-line block ×8, first 2 shown]
	v_add_f64 v[24:25], v[71:72], v[24:25]
	v_fma_f64 v[65:66], v[77:78], s[6:7], v[8:9]
	v_add_f64 v[33:34], v[60:61], v[33:34]
	v_fma_f64 v[60:61], v[14:15], s[8:9], v[31:32]
	v_fma_f64 v[8:9], v[77:78], s[8:9], v[8:9]
	;; [unrolled: 1-line block ×3, first 2 shown]
	v_add_f64 v[26:27], v[85:86], v[26:27]
	v_fma_f64 v[71:72], v[93:94], s[6:7], v[10:11]
	v_fma_f64 v[77:78], v[20:21], s[8:9], v[48:49]
	;; [unrolled: 1-line block ×4, first 2 shown]
	v_add_f64 v[38:39], v[97:98], v[38:39]
	v_fma_f64 v[75:76], v[99:100], s[6:7], v[4:5]
	v_fma_f64 v[79:80], v[22:23], s[8:9], v[56:57]
	;; [unrolled: 1-line block ×4, first 2 shown]
	ds_write2_b64 v73, v[16:17], v[67:68] offset1:22
	ds_write_b64 v73, v[0:1] offset:352
	ds_write2_b64 v149, v[18:19], v[69:70] offset1:22
	ds_write_b64 v149, v[2:3] offset:352
	;; [unrolled: 2-line block ×5, first 2 shown]
	s_waitcnt lgkmcnt(0)
	s_barrier
	buffer_gl0_inv
	ds_read2_b64 v[0:3], v124 offset1:110
	ds_read2_b64 v[4:7], v44 offset0:92 offset1:202
	ds_read2_b64 v[8:11], v42 offset0:20 offset1:130
	;; [unrolled: 1-line block ×6, first 2 shown]
	ds_read_b64 v[38:39], v124 offset:12320
	s_waitcnt lgkmcnt(0)
	s_barrier
	buffer_gl0_inv
	ds_write2_b64 v73, v[50:51], v[81:82] offset1:22
	ds_write_b64 v73, v[58:59] offset:352
	ds_write2_b64 v149, v[29:30], v[54:55] offset1:22
	ds_write_b64 v149, v[35:36] offset:352
	;; [unrolled: 2-line block ×5, first 2 shown]
	v_mul_lo_u16 v54, 0x42, v143
	v_lshlrev_b32_sdwa v69, v142, v145 dst_sel:DWORD dst_unused:UNUSED_PAD src0_sel:DWORD src1_sel:BYTE_0
	s_waitcnt lgkmcnt(0)
	s_barrier
	buffer_gl0_inv
	s_clause 0x3
	global_load_dwordx4 v[29:32], v[62:63], off offset:880
	global_load_dwordx4 v[33:36], v[62:63], off offset:896
	;; [unrolled: 1-line block ×4, first 2 shown]
	v_sub_nc_u16 v62, v64, v54
	s_clause 0x1
	global_load_dwordx4 v[54:57], v69, s[12:13] offset:880
	global_load_dwordx4 v[58:61], v69, s[12:13] offset:896
	v_mov_b32_e32 v73, 0xa50
	v_lshlrev_b32_e32 v115, 3, v133
	s_mov_b32 s8, 0x4755a5e
	v_lshlrev_b32_sdwa v63, v142, v62 dst_sel:DWORD dst_unused:UNUSED_PAD src0_sel:DWORD src1_sel:WORD_0
	s_clause 0x5
	global_load_dwordx4 v[65:68], v69, s[12:13] offset:912
	global_load_dwordx4 v[69:72], v69, s[12:13] offset:928
	;; [unrolled: 1-line block ×6, first 2 shown]
	ds_read2_b64 v[91:94], v44 offset0:92 offset1:202
	ds_read2_b64 v[95:98], v42 offset0:20 offset1:130
	;; [unrolled: 1-line block ×4, first 2 shown]
	v_cndmask_b32_e64 v63, 0, 0xa50, s0
	v_mul_u32_u24_sdwa v73, v141, v73 dst_sel:DWORD dst_unused:UNUSED_PAD src0_sel:WORD_0 src1_sel:DWORD
	v_lshlrev_b32_sdwa v28, v28, v62 dst_sel:DWORD dst_unused:UNUSED_PAD src0_sel:DWORD src1_sel:WORD_0
	ds_read2_b64 v[107:110], v40 offset0:56 offset1:166
	ds_read2_b64 v[111:114], v41 offset0:76 offset1:186
	v_add3_u32 v115, 0, v63, v115
	v_add3_u32 v73, 0, v73, v121
	;; [unrolled: 1-line block ×3, first 2 shown]
	ds_read2_b64 v[120:123], v124 offset1:110
	ds_read_b64 v[62:63], v124 offset:12320
	s_mov_b32 s9, 0xbfe2cf23
	s_mov_b32 s0, s8
	;; [unrolled: 1-line block ×4, first 2 shown]
	s_waitcnt vmcnt(0) lgkmcnt(0)
	s_barrier
	buffer_gl0_inv
	v_mul_f64 v[125:126], v[93:94], v[31:32]
	v_mul_f64 v[127:128], v[95:96], v[35:36]
	;; [unrolled: 1-line block ×24, first 2 shown]
	v_fma_f64 v[6:7], v[6:7], v[29:30], v[125:126]
	v_fma_f64 v[8:9], v[8:9], v[33:34], v[127:128]
	;; [unrolled: 1-line block ×8, first 2 shown]
	v_fma_f64 v[28:29], v[93:94], v[29:30], -v[31:32]
	v_fma_f64 v[30:31], v[95:96], v[33:34], -v[35:36]
	;; [unrolled: 1-line block ×4, first 2 shown]
	v_fma_f64 v[22:23], v[22:23], v[75:76], v[143:144]
	v_fma_f64 v[12:13], v[12:13], v[79:80], v[145:146]
	;; [unrolled: 1-line block ×4, first 2 shown]
	v_fma_f64 v[46:47], v[107:108], v[54:55], -v[56:57]
	v_fma_f64 v[48:49], v[97:98], v[58:59], -v[60:61]
	v_fma_f64 v[50:51], v[111:112], v[65:66], -v[67:68]
	v_fma_f64 v[52:53], v[105:106], v[69:70], -v[71:72]
	v_fma_f64 v[54:55], v[109:110], v[75:76], -v[77:78]
	v_fma_f64 v[56:57], v[99:100], v[79:80], -v[81:82]
	v_fma_f64 v[58:59], v[113:114], v[83:84], -v[85:86]
	v_fma_f64 v[60:61], v[62:63], v[87:88], -v[89:90]
	v_add_f64 v[62:63], v[0:1], v[6:7]
	v_add_f64 v[65:66], v[8:9], v[14:15]
	;; [unrolled: 1-line block ×3, first 2 shown]
	v_add_f64 v[71:72], v[6:7], -v[8:9]
	v_add_f64 v[75:76], v[16:17], -v[14:15]
	;; [unrolled: 1-line block ×4, first 2 shown]
	v_add_f64 v[99:100], v[2:3], v[20:21]
	v_add_f64 v[101:102], v[10:11], v[24:25]
	;; [unrolled: 1-line block ×3, first 2 shown]
	v_add_f64 v[67:68], v[28:29], -v[32:33]
	v_add_f64 v[83:84], v[120:121], v[28:29]
	v_add_f64 v[89:90], v[28:29], -v[30:31]
	v_add_f64 v[95:96], v[28:29], v[32:33]
	v_add_f64 v[28:29], v[30:31], -v[28:29]
	v_add_f64 v[97:98], v[34:35], -v[32:33]
	v_add_f64 v[143:144], v[4:5], v[22:23]
	v_add_f64 v[145:146], v[12:13], v[26:27]
	;; [unrolled: 1-line block ×4, first 2 shown]
	v_add_f64 v[87:88], v[8:9], -v[14:15]
	v_add_f64 v[107:108], v[20:21], -v[10:11]
	;; [unrolled: 1-line block ×3, first 2 shown]
	v_add_f64 v[139:140], v[46:47], v[52:53]
	v_add_f64 v[163:164], v[56:57], v[58:59]
	;; [unrolled: 1-line block ×4, first 2 shown]
	v_fma_f64 v[62:63], v[65:66], -0.5, v[0:1]
	v_add_f64 v[69:70], v[30:31], -v[34:35]
	v_fma_f64 v[0:1], v[77:78], -0.5, v[0:1]
	v_add_f64 v[103:104], v[46:47], -v[52:53]
	v_add_f64 v[113:114], v[10:11], -v[20:21]
	v_add_f64 v[131:132], v[10:11], -v[24:25]
	v_add_f64 v[65:66], v[71:72], v[75:76]
	v_add_f64 v[71:72], v[79:80], v[81:82]
	v_add_f64 v[10:11], v[99:100], v[10:11]
	v_fma_f64 v[81:82], v[101:102], -0.5, v[2:3]
	v_add_f64 v[105:106], v[48:49], -v[50:51]
	v_fma_f64 v[2:3], v[111:112], -0.5, v[2:3]
	v_add_f64 v[147:148], v[54:55], -v[60:61]
	v_add_f64 v[151:152], v[22:23], -v[12:13]
	;; [unrolled: 1-line block ×4, first 2 shown]
	v_add_f64 v[28:29], v[28:29], v[97:98]
	v_add_f64 v[12:13], v[143:144], v[12:13]
	v_fma_f64 v[97:98], v[145:146], -0.5, v[4:5]
	v_add_f64 v[6:7], v[6:7], -v[16:17]
	v_add_f64 v[93:94], v[32:33], -v[34:35]
	;; [unrolled: 1-line block ×3, first 2 shown]
	v_add_f64 v[127:128], v[122:123], v[46:47]
	v_add_f64 v[129:130], v[48:49], v[50:51]
	v_add_f64 v[149:150], v[56:57], -v[58:59]
	v_add_f64 v[30:31], v[83:84], v[30:31]
	v_fma_f64 v[75:76], v[85:86], -0.5, v[120:121]
	v_fma_f64 v[4:5], v[155:156], -0.5, v[4:5]
	;; [unrolled: 1-line block ×3, first 2 shown]
	v_add_f64 v[161:162], v[91:92], v[54:55]
	v_add_f64 v[83:84], v[107:108], v[109:110]
	v_fma_f64 v[95:96], v[139:140], -0.5, v[122:123]
	v_fma_f64 v[107:108], v[163:164], -0.5, v[91:92]
	v_fma_f64 v[91:92], v[171:172], -0.5, v[91:92]
	v_add_f64 v[8:9], v[8:9], v[14:15]
	v_fma_f64 v[14:15], v[67:68], s[14:15], v[62:63]
	v_fma_f64 v[62:63], v[67:68], s[16:17], v[62:63]
	;; [unrolled: 1-line block ×4, first 2 shown]
	v_add_f64 v[10:11], v[10:11], v[24:25]
	v_fma_f64 v[24:25], v[103:104], s[14:15], v[81:82]
	v_fma_f64 v[120:121], v[105:106], s[16:17], v[2:3]
	;; [unrolled: 1-line block ×4, first 2 shown]
	v_add_f64 v[153:154], v[38:39], -v[26:27]
	v_add_f64 v[159:160], v[26:27], -v[38:39]
	v_add_f64 v[12:13], v[12:13], v[26:27]
	v_fma_f64 v[26:27], v[147:148], s[14:15], v[97:98]
	v_add_f64 v[20:21], v[20:21], -v[18:19]
	v_add_f64 v[135:136], v[46:47], -v[48:49]
	;; [unrolled: 1-line block ×3, first 2 shown]
	v_add_f64 v[77:78], v[89:90], v[93:94]
	v_add_f64 v[85:86], v[113:114], v[125:126]
	;; [unrolled: 1-line block ×3, first 2 shown]
	v_fma_f64 v[89:90], v[129:130], -0.5, v[122:123]
	v_add_f64 v[30:31], v[30:31], v[34:35]
	v_fma_f64 v[34:35], v[6:7], s[16:17], v[75:76]
	v_fma_f64 v[75:76], v[6:7], s[14:15], v[75:76]
	;; [unrolled: 1-line block ×7, first 2 shown]
	v_add_f64 v[22:23], v[22:23], -v[38:39]
	v_add_f64 v[167:168], v[54:55], -v[56:57]
	;; [unrolled: 1-line block ×3, first 2 shown]
	v_add_f64 v[56:57], v[161:162], v[56:57]
	v_add_f64 v[141:142], v[50:51], -v[52:53]
	v_add_f64 v[173:174], v[58:59], -v[60:61]
	v_fma_f64 v[122:123], v[131:132], s[14:15], v[95:96]
	v_fma_f64 v[95:96], v[131:132], s[16:17], v[95:96]
	;; [unrolled: 1-line block ×5, first 2 shown]
	v_add_f64 v[8:9], v[8:9], v[16:17]
	v_fma_f64 v[16:17], v[69:70], s[0:1], v[62:63]
	v_fma_f64 v[62:63], v[67:68], s[8:9], v[111:112]
	;; [unrolled: 1-line block ×3, first 2 shown]
	v_add_f64 v[10:11], v[10:11], v[18:19]
	v_fma_f64 v[18:19], v[105:106], s[8:9], v[24:25]
	v_fma_f64 v[69:70], v[103:104], s[8:9], v[120:121]
	;; [unrolled: 1-line block ×4, first 2 shown]
	v_add_f64 v[99:100], v[151:152], v[153:154]
	v_fma_f64 v[26:27], v[149:150], s[8:9], v[26:27]
	v_add_f64 v[137:138], v[52:53], -v[50:51]
	v_add_f64 v[101:102], v[157:158], v[159:160]
	v_add_f64 v[48:49], v[48:49], v[50:51]
	v_fma_f64 v[50:51], v[20:21], s[16:17], v[89:90]
	v_add_f64 v[30:31], v[30:31], v[32:33]
	v_fma_f64 v[32:33], v[87:88], s[0:1], v[34:35]
	v_fma_f64 v[34:35], v[87:88], s[8:9], v[75:76]
	v_fma_f64 v[75:76], v[147:148], s[8:9], v[125:126]
	v_fma_f64 v[4:5], v[147:148], s[0:1], v[4:5]
	v_fma_f64 v[67:68], v[6:7], s[0:1], v[113:114]
	v_fma_f64 v[6:7], v[6:7], s[8:9], v[79:80]
	v_fma_f64 v[79:80], v[149:150], s[0:1], v[97:98]
	v_fma_f64 v[89:90], v[20:21], s[14:15], v[89:90]
	v_add_f64 v[169:170], v[60:61], -v[58:59]
	v_add_f64 v[56:57], v[56:57], v[58:59]
	v_fma_f64 v[58:59], v[22:23], s[16:17], v[107:108]
	v_fma_f64 v[107:108], v[22:23], s[14:15], v[107:108]
	v_add_f64 v[46:47], v[46:47], v[141:142]
	v_add_f64 v[54:55], v[54:55], v[173:174]
	v_fma_f64 v[81:82], v[20:21], s[0:1], v[122:123]
	v_fma_f64 v[20:21], v[20:21], s[8:9], v[95:96]
	;; [unrolled: 1-line block ×12, first 2 shown]
	v_add_f64 v[12:13], v[12:13], v[38:39]
	v_fma_f64 v[26:27], v[99:100], s[6:7], v[26:27]
	v_add_f64 v[93:94], v[135:136], v[137:138]
	v_fma_f64 v[50:51], v[131:132], s[0:1], v[50:51]
	v_fma_f64 v[69:70], v[101:102], s[6:7], v[75:76]
	;; [unrolled: 1-line block ×4, first 2 shown]
	v_add_f64 v[48:49], v[48:49], v[52:53]
	v_fma_f64 v[52:53], v[131:132], s[8:9], v[89:90]
	v_add_f64 v[109:110], v[167:168], v[169:170]
	v_fma_f64 v[38:39], v[165:166], s[0:1], v[58:59]
	v_fma_f64 v[58:59], v[165:166], s[8:9], v[107:108]
	v_add_f64 v[56:57], v[56:57], v[60:61]
	v_fma_f64 v[60:61], v[28:29], s[6:7], v[67:68]
	v_fma_f64 v[28:29], v[28:29], s[6:7], v[6:7]
	;; [unrolled: 1-line block ×6, first 2 shown]
	ds_write2_b64 v115, v[8:9], v[14:15] offset1:66
	ds_write2_b64 v115, v[62:63], v[0:1] offset0:132 offset1:198
	ds_write_b64 v115, v[16:17] offset:2112
	ds_write2_b64 v73, v[10:11], v[18:19] offset1:66
	ds_write2_b64 v73, v[65:66], v[2:3] offset0:132 offset1:198
	ds_write_b64 v73, v[24:25] offset:2112
	;; [unrolled: 3-line block ×3, first 2 shown]
	s_waitcnt lgkmcnt(0)
	s_barrier
	buffer_gl0_inv
	ds_read2_b64 v[0:3], v124 offset1:110
	ds_read2_b64 v[4:7], v44 offset0:92 offset1:202
	ds_read2_b64 v[12:15], v42 offset0:20 offset1:130
	;; [unrolled: 1-line block ×6, first 2 shown]
	ds_read_b64 v[80:81], v124 offset:12320
	v_fma_f64 v[32:33], v[77:78], s[6:7], v[32:33]
	v_fma_f64 v[34:35], v[77:78], s[6:7], v[34:35]
	;; [unrolled: 1-line block ×3, first 2 shown]
	s_waitcnt lgkmcnt(0)
	s_barrier
	v_fma_f64 v[52:53], v[93:94], s[6:7], v[52:53]
	buffer_gl0_inv
	v_fma_f64 v[38:39], v[109:110], s[6:7], v[38:39]
	v_fma_f64 v[58:59], v[109:110], s[6:7], v[58:59]
	ds_write2_b64 v115, v[30:31], v[32:33] offset1:66
	ds_write2_b64 v115, v[60:61], v[28:29] offset0:132 offset1:198
	ds_write_b64 v115, v[34:35] offset:2112
	ds_write2_b64 v73, v[48:49], v[50:51] offset1:66
	ds_write2_b64 v73, v[67:68], v[46:47] offset0:132 offset1:198
	ds_write_b64 v73, v[52:53] offset:2112
	;; [unrolled: 3-line block ×3, first 2 shown]
	s_waitcnt lgkmcnt(0)
	s_barrier
	buffer_gl0_inv
	s_and_saveexec_b32 s18, vcc_lo
	s_cbranch_execz .LBB0_29
; %bb.28:
	v_lshlrev_b32_e32 v36, 2, v64
	v_mul_hi_u32 v93, 0x634c0635, v134
	v_add_nc_u32_e32 v112, 0x6e, v134
	v_add_nc_u32_e32 v113, 0xdc, v134
	v_mul_lo_u32 v100, s5, v118
	v_lshlrev_b64 v[28:29], 4, v[36:37]
	v_lshlrev_b32_e32 v36, 2, v74
	v_mul_hi_u32 v107, 0x634c0635, v112
	v_mul_hi_u32 v110, 0x634c0635, v113
	v_mul_lo_u32 v101, s4, v119
	v_mad_u64_u32 v[104:105], null, s4, v118, 0
	v_add_co_u32 v30, vcc_lo, s12, v28
	v_add_co_ci_u32_e32 v31, vcc_lo, s13, v29, vcc_lo
	v_lshlrev_b64 v[28:29], 4, v[36:37]
	v_add_co_u32 v38, vcc_lo, 0x13f0, v30
	v_add_co_ci_u32_e32 v39, vcc_lo, 0, v31, vcc_lo
	v_add_co_u32 v30, vcc_lo, 0x1000, v30
	v_add_co_ci_u32_e32 v31, vcc_lo, 0, v31, vcc_lo
	v_add_co_u32 v42, vcc_lo, s12, v28
	v_lshlrev_b32_e32 v36, 2, v134
	v_add_co_ci_u32_e32 v43, vcc_lo, s13, v29, vcc_lo
	v_add_co_u32 v40, vcc_lo, 0x1000, v42
	v_lshlrev_b64 v[36:37], 4, v[36:37]
	v_add_co_ci_u32_e32 v41, vcc_lo, 0, v43, vcc_lo
	v_add_co_u32 v52, vcc_lo, 0x13f0, v42
	v_add_co_ci_u32_e32 v53, vcc_lo, 0, v43, vcc_lo
	s_clause 0x5
	global_load_dwordx4 v[28:31], v[30:31], off offset:1008
	global_load_dwordx4 v[32:35], v[38:39], off offset:48
	;; [unrolled: 1-line block ×6, first 2 shown]
	v_add_co_u32 v38, vcc_lo, s12, v36
	v_add_co_ci_u32_e32 v39, vcc_lo, s13, v37, vcc_lo
	s_clause 0x1
	global_load_dwordx4 v[48:51], v[52:53], off offset:32
	global_load_dwordx4 v[52:55], v[52:53], off offset:16
	v_add_co_u32 v36, vcc_lo, 0x13f0, v38
	v_add_co_ci_u32_e32 v37, vcc_lo, 0, v39, vcc_lo
	v_add_co_u32 v38, vcc_lo, 0x1000, v38
	v_add_co_ci_u32_e32 v39, vcc_lo, 0, v39, vcc_lo
	s_clause 0x3
	global_load_dwordx4 v[72:75], v[36:37], off offset:16
	global_load_dwordx4 v[64:67], v[38:39], off offset:1008
	;; [unrolled: 1-line block ×4, first 2 shown]
	v_lshrrev_b32_e32 v111, 7, v93
	v_lshlrev_b64 v[108:109], 4, v[116:117]
	v_lshrrev_b32_e32 v116, 7, v107
	v_lshrrev_b32_e32 v118, 7, v110
	v_add3_u32 v105, v105, v101, v100
	v_mul_u32_u24_e32 v114, 0x14a, v111
	v_add_nc_u32_e32 v84, 0x1800, v124
	v_add_nc_u32_e32 v88, 0xc00, v124
	v_mul_u32_u24_e32 v115, 0x14a, v118
	v_lshlrev_b64 v[110:111], 4, v[104:105]
	v_sub_nc_u32_e32 v122, v134, v114
	v_mul_u32_u24_e32 v114, 0x14a, v116
	v_add_nc_u32_e32 v92, 0x2000, v124
	v_sub_nc_u32_e32 v121, v113, v115
	ds_read_b64 v[82:83], v124 offset:12320
	v_add_nc_u32_e32 v141, 0x294, v122
	v_sub_nc_u32_e32 v120, v112, v114
	v_add_co_u32 v117, vcc_lo, s10, v110
	v_add_nc_u32_e32 v142, 0x3de, v122
	v_add_co_ci_u32_e32 v119, vcc_lo, s11, v111, vcc_lo
	v_add_nc_u32_e32 v139, 0x14a, v122
	v_add_nc_u32_e32 v143, 0x528, v122
	v_mad_u32_u24 v144, 0x672, v116, v120
	v_mad_u32_u24 v145, 0x672, v118, v121
	v_mad_u64_u32 v[110:111], null, s2, v122, 0
	v_mad_u64_u32 v[112:113], null, s2, v141, 0
	v_add_co_u32 v186, vcc_lo, v117, v108
	v_mad_u64_u32 v[114:115], null, s2, v142, 0
	v_add_co_ci_u32_e32 v187, vcc_lo, v119, v109, vcc_lo
	v_mad_u64_u32 v[108:109], null, s2, v139, 0
	v_mad_u64_u32 v[116:117], null, s2, v143, 0
	;; [unrolled: 1-line block ×3, first 2 shown]
	v_add_nc_u32_e32 v146, 0x14a, v144
	v_add_nc_u32_e32 v148, 0x3de, v144
	;; [unrolled: 1-line block ×8, first 2 shown]
	v_mad_u64_u32 v[120:121], null, s2, v145, 0
	v_mad_u64_u32 v[122:123], null, s3, v122, v[111:112]
	v_add_nc_u32_e32 v96, 0x400, v124
	v_add_nc_u32_e32 v102, 0x1400, v124
	v_add_nc_u32_e32 v106, 0x2800, v124
	ds_read2_b64 v[36:39], v124 offset1:110
	v_mad_u64_u32 v[123:124], null, s2, v146, 0
	v_mad_u64_u32 v[127:128], null, s2, v148, 0
	v_mad_u64_u32 v[131:132], null, s2, v150, 0
	v_mov_b32_e32 v111, v113
	v_mad_u64_u32 v[125:126], null, s2, v147, 0
	v_mad_u64_u32 v[129:130], null, s2, v149, 0
	;; [unrolled: 1-line block ×3, first 2 shown]
	v_mov_b32_e32 v113, v115
	v_mad_u64_u32 v[135:136], null, s2, v152, 0
	v_mov_b32_e32 v115, v117
	v_mad_u64_u32 v[137:138], null, s2, v153, 0
	v_mad_u64_u32 v[139:140], null, s3, v139, v[109:110]
	v_mov_b32_e32 v109, v119
	v_mad_u64_u32 v[140:141], null, s3, v141, v[111:112]
	;; [unrolled: 3-line block ×3, first 2 shown]
	v_mov_b32_e32 v111, v122
	v_mad_u64_u32 v[121:122], null, s3, v144, v[109:110]
	v_mov_b32_e32 v119, v124
	v_mov_b32_e32 v124, v128
	;; [unrolled: 1-line block ×3, first 2 shown]
	ds_read2_b64 v[84:87], v84 offset0:112 offset1:222
	ds_read2_b64 v[88:91], v88 offset0:56 offset1:166
	;; [unrolled: 1-line block ×6, first 2 shown]
	v_mov_b32_e32 v122, v126
	v_mov_b32_e32 v126, v130
	v_mov_b32_e32 v130, v134
	v_mov_b32_e32 v132, v136
	v_mov_b32_e32 v134, v138
	v_mad_u64_u32 v[143:144], null, s3, v145, v[113:114]
	v_mov_b32_e32 v109, v139
	v_mad_u64_u32 v[138:139], null, s3, v146, v[119:120]
	v_mad_u64_u32 v[144:145], null, s3, v150, v[128:129]
	v_mov_b32_e32 v113, v140
	v_mad_u64_u32 v[139:140], null, s3, v147, v[122:123]
	;; [unrolled: 3-line block ×4, first 2 shown]
	v_mad_u64_u32 v[147:148], null, s3, v153, v[134:135]
	v_mov_b32_e32 v124, v138
	v_mov_b32_e32 v126, v139
	v_mov_b32_e32 v128, v140
	v_mov_b32_e32 v132, v144
	v_mov_b32_e32 v130, v141
	v_mov_b32_e32 v134, v145
	v_mov_b32_e32 v136, v146
	v_mov_b32_e32 v138, v147
	v_mov_b32_e32 v119, v121
	v_mov_b32_e32 v121, v143
	v_lshlrev_b64 v[122:123], 4, v[123:124]
	v_lshlrev_b64 v[124:125], 4, v[125:126]
	;; [unrolled: 1-line block ×14, first 2 shown]
	v_add_co_u32 v110, vcc_lo, v186, v110
	v_add_co_ci_u32_e32 v111, vcc_lo, v187, v111, vcc_lo
	v_add_co_u32 v108, vcc_lo, v186, v108
	v_add_co_ci_u32_e32 v109, vcc_lo, v187, v109, vcc_lo
	;; [unrolled: 2-line block ×4, first 2 shown]
	v_lshlrev_b64 v[120:121], 4, v[120:121]
	v_add_co_u32 v116, vcc_lo, v186, v116
	v_add_co_ci_u32_e32 v117, vcc_lo, v187, v117, vcc_lo
	v_add_co_u32 v118, vcc_lo, v186, v118
	v_add_co_ci_u32_e32 v119, vcc_lo, v187, v119, vcc_lo
	;; [unrolled: 2-line block ×8, first 2 shown]
	s_waitcnt vmcnt(9)
	v_mul_f64 v[142:143], v[26:27], v[58:59]
	s_waitcnt vmcnt(8)
	v_mul_f64 v[138:139], v[16:17], v[62:63]
	v_mul_f64 v[140:141], v[22:23], v[30:31]
	;; [unrolled: 1-line block ×3, first 2 shown]
	s_waitcnt lgkmcnt(5)
	v_mul_f64 v[62:63], v[84:85], v[62:63]
	s_waitcnt lgkmcnt(3)
	v_mul_f64 v[58:59], v[94:95], v[58:59]
	v_mul_f64 v[30:31], v[90:91], v[30:31]
	;; [unrolled: 1-line block ×3, first 2 shown]
	s_waitcnt vmcnt(7)
	v_mul_f64 v[148:149], v[20:21], v[42:43]
	s_waitcnt vmcnt(6)
	v_mul_f64 v[152:153], v[10:11], v[46:47]
	v_mul_f64 v[42:43], v[88:89], v[42:43]
	s_waitcnt lgkmcnt(0)
	v_mul_f64 v[46:47], v[106:107], v[46:47]
	s_waitcnt vmcnt(4)
	v_mul_f64 v[146:147], v[14:15], v[54:55]
	v_mul_f64 v[54:55], v[102:103], v[54:55]
	;; [unrolled: 1-line block ×4, first 2 shown]
	s_waitcnt vmcnt(3)
	v_mul_f64 v[154:155], v[12:13], v[74:75]
	s_waitcnt vmcnt(2)
	v_mul_f64 v[156:157], v[6:7], v[66:67]
	s_waitcnt vmcnt(1)
	v_mul_f64 v[158:159], v[18:19], v[78:79]
	s_waitcnt vmcnt(0)
	v_mul_f64 v[160:161], v[8:9], v[70:71]
	v_mul_f64 v[74:75], v[100:101], v[74:75]
	v_mul_f64 v[78:79], v[86:87], v[78:79]
	;; [unrolled: 1-line block ×4, first 2 shown]
	v_fma_f64 v[84:85], v[84:85], v[60:61], -v[138:139]
	v_fma_f64 v[90:91], v[90:91], v[28:29], -v[140:141]
	;; [unrolled: 1-line block ×4, first 2 shown]
	v_fma_f64 v[16:17], v[16:17], v[60:61], v[62:63]
	v_fma_f64 v[26:27], v[26:27], v[56:57], v[58:59]
	;; [unrolled: 1-line block ×4, first 2 shown]
	v_fma_f64 v[32:33], v[88:89], v[40:41], -v[148:149]
	v_fma_f64 v[56:57], v[106:107], v[44:45], -v[152:153]
	v_fma_f64 v[20:21], v[20:21], v[40:41], v[42:43]
	v_fma_f64 v[10:11], v[10:11], v[44:45], v[46:47]
	;; [unrolled: 1-line block ×3, first 2 shown]
	v_fma_f64 v[30:31], v[102:103], v[52:53], -v[146:147]
	v_fma_f64 v[40:41], v[100:101], v[72:73], -v[154:155]
	;; [unrolled: 1-line block ×5, first 2 shown]
	v_fma_f64 v[12:13], v[12:13], v[72:73], v[74:75]
	v_fma_f64 v[18:19], v[18:19], v[76:77], v[78:79]
	;; [unrolled: 1-line block ×4, first 2 shown]
	v_fma_f64 v[34:35], v[92:93], v[48:49], -v[150:151]
	v_fma_f64 v[24:25], v[24:25], v[48:49], v[50:51]
	v_add_co_u32 v60, vcc_lo, v186, v132
	v_add_f64 v[48:49], v[84:85], -v[90:91]
	v_add_f64 v[50:51], v[94:95], -v[82:83]
	v_add_f64 v[54:55], v[90:91], v[82:83]
	v_add_f64 v[62:63], v[90:91], -v[84:85]
	v_add_f64 v[64:65], v[82:83], -v[94:95]
	v_add_f64 v[66:67], v[84:85], v[94:95]
	v_add_f64 v[68:69], v[90:91], v[96:97]
	;; [unrolled: 1-line block ×4, first 2 shown]
	v_add_f64 v[102:103], v[20:21], -v[10:11]
	v_add_f64 v[138:139], v[32:33], v[38:39]
	v_add_f64 v[140:141], v[14:15], -v[20:21]
	v_add_f64 v[168:169], v[40:41], v[44:45]
	v_add_f64 v[160:161], v[42:43], v[46:47]
	;; [unrolled: 1-line block ×4, first 2 shown]
	v_add_f64 v[148:149], v[20:21], -v[14:15]
	v_add_f64 v[176:177], v[6:7], v[8:9]
	v_add_f64 v[20:21], v[2:3], v[20:21]
	;; [unrolled: 1-line block ×3, first 2 shown]
	v_add_co_ci_u32_e32 v61, vcc_lo, v187, v133, vcc_lo
	v_add_f64 v[58:59], v[22:23], -v[28:29]
	v_add_f64 v[70:71], v[16:17], -v[22:23]
	;; [unrolled: 1-line block ×3, first 2 shown]
	v_add_f64 v[22:23], v[4:5], v[22:23]
	v_add_f64 v[100:101], v[32:33], v[56:57]
	;; [unrolled: 1-line block ×4, first 2 shown]
	v_add_f64 v[162:163], v[6:7], -v[8:9]
	v_add_f64 v[172:173], v[12:13], -v[6:7]
	;; [unrolled: 1-line block ×3, first 2 shown]
	v_add_f64 v[6:7], v[0:1], v[6:7]
	v_add_f64 v[52:53], v[16:17], -v[26:27]
	v_add_f64 v[72:73], v[26:27], -v[28:29]
	;; [unrolled: 1-line block ×10, first 2 shown]
	v_add_f64 v[48:49], v[48:49], v[50:51]
	v_fma_f64 v[50:51], v[54:55], -0.5, v[96:97]
	v_add_f64 v[54:55], v[62:63], v[64:65]
	v_fma_f64 v[62:63], v[66:67], -0.5, v[96:97]
	;; [unrolled: 2-line block ×3, first 2 shown]
	v_fma_f64 v[4:5], v[88:89], -0.5, v[4:5]
	v_fma_f64 v[88:89], v[160:161], -0.5, v[36:37]
	;; [unrolled: 1-line block ×5, first 2 shown]
	v_add_f64 v[74:75], v[90:91], -v[82:83]
	v_add_f64 v[90:91], v[30:31], -v[32:33]
	v_add_f64 v[98:99], v[14:15], -v[24:25]
	v_add_f64 v[146:147], v[30:31], -v[34:35]
	v_add_f64 v[158:159], v[12:13], -v[18:19]
	v_add_f64 v[178:179], v[40:41], -v[44:45]
	v_add_f64 v[30:31], v[30:31], v[138:139]
	v_add_f64 v[14:15], v[14:15], v[20:21]
	;; [unrolled: 1-line block ×4, first 2 shown]
	v_fma_f64 v[22:23], v[100:101], -0.5, v[38:39]
	v_fma_f64 v[38:39], v[132:133], -0.5, v[38:39]
	v_add_f64 v[150:151], v[10:11], -v[24:25]
	v_add_f64 v[32:33], v[32:33], -v[56:57]
	v_fma_f64 v[84:85], v[144:145], -0.5, v[2:3]
	v_fma_f64 v[2:3], v[152:153], -0.5, v[2:3]
	v_add_f64 v[6:7], v[12:13], v[6:7]
	v_add_f64 v[92:93], v[34:35], -v[56:57]
	v_add_f64 v[166:167], v[46:47], -v[44:45]
	;; [unrolled: 1-line block ×3, first 2 shown]
	v_add_f64 v[66:67], v[70:71], v[72:73]
	v_add_f64 v[70:71], v[80:81], v[86:87]
	;; [unrolled: 1-line block ×4, first 2 shown]
	v_fma_f64 v[12:13], v[52:53], s[16:17], v[50:51]
	v_fma_f64 v[50:51], v[52:53], s[14:15], v[50:51]
	;; [unrolled: 1-line block ×4, first 2 shown]
	v_add_f64 v[64:65], v[94:95], v[64:65]
	v_fma_f64 v[94:95], v[78:79], s[14:15], v[68:69]
	v_fma_f64 v[142:143], v[162:163], s[14:15], v[36:37]
	;; [unrolled: 1-line block ×4, first 2 shown]
	v_add_f64 v[156:157], v[44:45], -v[46:47]
	v_add_f64 v[174:175], v[18:19], -v[8:9]
	v_add_f64 v[30:31], v[34:35], v[30:31]
	v_add_f64 v[14:15], v[14:15], v[24:25]
	v_fma_f64 v[24:25], v[158:159], s[16:17], v[88:89]
	v_fma_f64 v[88:89], v[158:159], s[14:15], v[88:89]
	v_add_f64 v[40:41], v[44:45], v[40:41]
	v_fma_f64 v[44:45], v[178:179], s[14:15], v[96:97]
	v_fma_f64 v[96:97], v[178:179], s[16:17], v[96:97]
	;; [unrolled: 1-line block ×7, first 2 shown]
	v_add_f64 v[86:87], v[148:149], v[150:151]
	v_add_f64 v[16:17], v[16:17], v[26:27]
	v_fma_f64 v[26:27], v[98:99], s[16:17], v[22:23]
	v_fma_f64 v[22:23], v[98:99], s[14:15], v[22:23]
	;; [unrolled: 1-line block ×7, first 2 shown]
	v_add_f64 v[18:19], v[6:7], v[18:19]
	v_add_f64 v[72:73], v[90:91], v[92:93]
	;; [unrolled: 1-line block ×4, first 2 shown]
	v_fma_f64 v[12:13], v[58:59], s[8:9], v[12:13]
	v_fma_f64 v[50:51], v[58:59], s[0:1], v[50:51]
	;; [unrolled: 1-line block ×7, first 2 shown]
	v_add_f64 v[20:21], v[154:155], v[156:157]
	v_add_f64 v[92:93], v[172:173], v[174:175]
	;; [unrolled: 1-line block ×3, first 2 shown]
	v_fma_f64 v[56:57], v[162:163], s[0:1], v[88:89]
	v_fma_f64 v[96:97], v[42:43], s[8:9], v[96:97]
	v_add_f64 v[2:3], v[82:83], v[64:65]
	v_fma_f64 v[64:65], v[74:75], s[8:9], v[68:69]
	v_fma_f64 v[68:69], v[78:79], s[0:1], v[106:107]
	;; [unrolled: 1-line block ×7, first 2 shown]
	v_add_f64 v[0:1], v[16:17], v[28:29]
	v_fma_f64 v[16:17], v[102:103], s[8:9], v[26:27]
	v_fma_f64 v[28:29], v[102:103], s[0:1], v[22:23]
	;; [unrolled: 1-line block ×8, first 2 shown]
	v_add_f64 v[4:5], v[14:15], v[10:11]
	v_add_f64 v[10:11], v[46:47], v[40:41]
	;; [unrolled: 1-line block ×3, first 2 shown]
	v_fma_f64 v[22:23], v[54:55], s[6:7], v[58:59]
	v_fma_f64 v[26:27], v[54:55], s[6:7], v[52:53]
	;; [unrolled: 1-line block ×24, first 2 shown]
	v_add_co_u32 v62, vcc_lo, v186, v134
	v_add_co_ci_u32_e32 v63, vcc_lo, v187, v135, vcc_lo
	v_add_co_u32 v64, vcc_lo, v186, v136
	v_add_co_ci_u32_e32 v65, vcc_lo, v187, v137, vcc_lo
	global_store_dwordx4 v[110:111], v[8:11], off
	global_store_dwordx4 v[108:109], v[52:55], off
	;; [unrolled: 1-line block ×15, first 2 shown]
.LBB0_29:
	s_endpgm
	.section	.rodata,"a",@progbits
	.p2align	6, 0x0
	.amdhsa_kernel fft_rtc_back_len1650_factors_11_2_3_5_5_wgs_110_tpt_110_halfLds_dp_op_CI_CI_sbrr_dirReg
		.amdhsa_group_segment_fixed_size 0
		.amdhsa_private_segment_fixed_size 0
		.amdhsa_kernarg_size 104
		.amdhsa_user_sgpr_count 6
		.amdhsa_user_sgpr_private_segment_buffer 1
		.amdhsa_user_sgpr_dispatch_ptr 0
		.amdhsa_user_sgpr_queue_ptr 0
		.amdhsa_user_sgpr_kernarg_segment_ptr 1
		.amdhsa_user_sgpr_dispatch_id 0
		.amdhsa_user_sgpr_flat_scratch_init 0
		.amdhsa_user_sgpr_private_segment_size 0
		.amdhsa_wavefront_size32 1
		.amdhsa_uses_dynamic_stack 0
		.amdhsa_system_sgpr_private_segment_wavefront_offset 0
		.amdhsa_system_sgpr_workgroup_id_x 1
		.amdhsa_system_sgpr_workgroup_id_y 0
		.amdhsa_system_sgpr_workgroup_id_z 0
		.amdhsa_system_sgpr_workgroup_info 0
		.amdhsa_system_vgpr_workitem_id 0
		.amdhsa_next_free_vgpr 194
		.amdhsa_next_free_sgpr 42
		.amdhsa_reserve_vcc 1
		.amdhsa_reserve_flat_scratch 0
		.amdhsa_float_round_mode_32 0
		.amdhsa_float_round_mode_16_64 0
		.amdhsa_float_denorm_mode_32 3
		.amdhsa_float_denorm_mode_16_64 3
		.amdhsa_dx10_clamp 1
		.amdhsa_ieee_mode 1
		.amdhsa_fp16_overflow 0
		.amdhsa_workgroup_processor_mode 1
		.amdhsa_memory_ordered 1
		.amdhsa_forward_progress 0
		.amdhsa_shared_vgpr_count 0
		.amdhsa_exception_fp_ieee_invalid_op 0
		.amdhsa_exception_fp_denorm_src 0
		.amdhsa_exception_fp_ieee_div_zero 0
		.amdhsa_exception_fp_ieee_overflow 0
		.amdhsa_exception_fp_ieee_underflow 0
		.amdhsa_exception_fp_ieee_inexact 0
		.amdhsa_exception_int_div_zero 0
	.end_amdhsa_kernel
	.text
.Lfunc_end0:
	.size	fft_rtc_back_len1650_factors_11_2_3_5_5_wgs_110_tpt_110_halfLds_dp_op_CI_CI_sbrr_dirReg, .Lfunc_end0-fft_rtc_back_len1650_factors_11_2_3_5_5_wgs_110_tpt_110_halfLds_dp_op_CI_CI_sbrr_dirReg
                                        ; -- End function
	.section	.AMDGPU.csdata,"",@progbits
; Kernel info:
; codeLenInByte = 17664
; NumSgprs: 44
; NumVgprs: 194
; ScratchSize: 0
; MemoryBound: 1
; FloatMode: 240
; IeeeMode: 1
; LDSByteSize: 0 bytes/workgroup (compile time only)
; SGPRBlocks: 5
; VGPRBlocks: 24
; NumSGPRsForWavesPerEU: 44
; NumVGPRsForWavesPerEU: 194
; Occupancy: 4
; WaveLimiterHint : 1
; COMPUTE_PGM_RSRC2:SCRATCH_EN: 0
; COMPUTE_PGM_RSRC2:USER_SGPR: 6
; COMPUTE_PGM_RSRC2:TRAP_HANDLER: 0
; COMPUTE_PGM_RSRC2:TGID_X_EN: 1
; COMPUTE_PGM_RSRC2:TGID_Y_EN: 0
; COMPUTE_PGM_RSRC2:TGID_Z_EN: 0
; COMPUTE_PGM_RSRC2:TIDIG_COMP_CNT: 0
	.text
	.p2alignl 6, 3214868480
	.fill 48, 4, 3214868480
	.type	__hip_cuid_6f092e679f921741,@object ; @__hip_cuid_6f092e679f921741
	.section	.bss,"aw",@nobits
	.globl	__hip_cuid_6f092e679f921741
__hip_cuid_6f092e679f921741:
	.byte	0                               ; 0x0
	.size	__hip_cuid_6f092e679f921741, 1

	.ident	"AMD clang version 19.0.0git (https://github.com/RadeonOpenCompute/llvm-project roc-6.4.0 25133 c7fe45cf4b819c5991fe208aaa96edf142730f1d)"
	.section	".note.GNU-stack","",@progbits
	.addrsig
	.addrsig_sym __hip_cuid_6f092e679f921741
	.amdgpu_metadata
---
amdhsa.kernels:
  - .args:
      - .actual_access:  read_only
        .address_space:  global
        .offset:         0
        .size:           8
        .value_kind:     global_buffer
      - .offset:         8
        .size:           8
        .value_kind:     by_value
      - .actual_access:  read_only
        .address_space:  global
        .offset:         16
        .size:           8
        .value_kind:     global_buffer
      - .actual_access:  read_only
        .address_space:  global
        .offset:         24
        .size:           8
        .value_kind:     global_buffer
      - .actual_access:  read_only
        .address_space:  global
        .offset:         32
        .size:           8
        .value_kind:     global_buffer
      - .offset:         40
        .size:           8
        .value_kind:     by_value
      - .actual_access:  read_only
        .address_space:  global
        .offset:         48
        .size:           8
        .value_kind:     global_buffer
      - .actual_access:  read_only
        .address_space:  global
        .offset:         56
        .size:           8
        .value_kind:     global_buffer
      - .offset:         64
        .size:           4
        .value_kind:     by_value
      - .actual_access:  read_only
        .address_space:  global
        .offset:         72
        .size:           8
        .value_kind:     global_buffer
      - .actual_access:  read_only
        .address_space:  global
        .offset:         80
        .size:           8
        .value_kind:     global_buffer
      - .actual_access:  read_only
        .address_space:  global
        .offset:         88
        .size:           8
        .value_kind:     global_buffer
      - .actual_access:  write_only
        .address_space:  global
        .offset:         96
        .size:           8
        .value_kind:     global_buffer
    .group_segment_fixed_size: 0
    .kernarg_segment_align: 8
    .kernarg_segment_size: 104
    .language:       OpenCL C
    .language_version:
      - 2
      - 0
    .max_flat_workgroup_size: 110
    .name:           fft_rtc_back_len1650_factors_11_2_3_5_5_wgs_110_tpt_110_halfLds_dp_op_CI_CI_sbrr_dirReg
    .private_segment_fixed_size: 0
    .sgpr_count:     44
    .sgpr_spill_count: 0
    .symbol:         fft_rtc_back_len1650_factors_11_2_3_5_5_wgs_110_tpt_110_halfLds_dp_op_CI_CI_sbrr_dirReg.kd
    .uniform_work_group_size: 1
    .uses_dynamic_stack: false
    .vgpr_count:     194
    .vgpr_spill_count: 0
    .wavefront_size: 32
    .workgroup_processor_mode: 1
amdhsa.target:   amdgcn-amd-amdhsa--gfx1030
amdhsa.version:
  - 1
  - 2
...

	.end_amdgpu_metadata
